;; amdgpu-corpus repo=ROCm/rocFFT kind=compiled arch=gfx1201 opt=O3
	.text
	.amdgcn_target "amdgcn-amd-amdhsa--gfx1201"
	.amdhsa_code_object_version 6
	.protected	bluestein_single_fwd_len1617_dim1_sp_op_CI_CI ; -- Begin function bluestein_single_fwd_len1617_dim1_sp_op_CI_CI
	.globl	bluestein_single_fwd_len1617_dim1_sp_op_CI_CI
	.p2align	8
	.type	bluestein_single_fwd_len1617_dim1_sp_op_CI_CI,@function
bluestein_single_fwd_len1617_dim1_sp_op_CI_CI: ; @bluestein_single_fwd_len1617_dim1_sp_op_CI_CI
; %bb.0:
	s_load_b128 s[8:11], s[0:1], 0x28
	v_mul_u32_u24_e32 v1, 0x11c, v0
	s_mov_b32 s2, exec_lo
	v_mov_b32_e32 v65, 0
	s_delay_alu instid0(VALU_DEP_2) | instskip(NEXT) | instid1(VALU_DEP_1)
	v_lshrrev_b32_e32 v1, 16, v1
	v_add_nc_u32_e32 v64, ttmp9, v1
	s_wait_kmcnt 0x0
	s_delay_alu instid0(VALU_DEP_1)
	v_cmpx_gt_u64_e64 s[8:9], v[64:65]
	s_cbranch_execz .LBB0_23
; %bb.1:
	s_clause 0x1
	s_load_b128 s[4:7], s[0:1], 0x18
	s_load_b64 s[16:17], s[0:1], 0x0
	v_mul_lo_u16 v1, 0xe7, v1
	s_movk_i32 s2, 0xfcb1
	s_mov_b32 s3, -1
	s_delay_alu instid0(VALU_DEP_1) | instskip(NEXT) | instid1(VALU_DEP_1)
	v_sub_nc_u16 v18, v0, v1
	v_and_b32_e32 v84, 0xffff, v18
	s_wait_kmcnt 0x0
	s_load_b128 s[12:15], s[4:5], 0x0
	s_wait_kmcnt 0x0
	v_mad_co_u64_u32 v[0:1], null, s14, v64, 0
	v_mad_co_u64_u32 v[2:3], null, s12, v84, 0
	s_mul_u64 s[4:5], s[12:13], 0x21b
	s_mul_u64 s[2:3], s[12:13], s[2:3]
	s_delay_alu instid0(SALU_CYCLE_1) | instskip(NEXT) | instid1(VALU_DEP_1)
	s_lshl_b64 s[2:3], s[2:3], 3
	v_mad_co_u64_u32 v[4:5], null, s15, v64, v[1:2]
	s_delay_alu instid0(VALU_DEP_1) | instskip(NEXT) | instid1(VALU_DEP_3)
	v_mov_b32_e32 v1, v4
	v_mad_co_u64_u32 v[5:6], null, s13, v84, v[3:4]
	v_lshlrev_b32_e32 v83, 3, v84
	s_clause 0x2
	global_load_b64 v[73:74], v83, s[16:17]
	global_load_b64 v[67:68], v83, s[16:17] offset:8624
	global_load_b64 v[69:70], v83, s[16:17] offset:6160
	v_mov_b32_e32 v3, v5
	v_lshlrev_b64_e32 v[0:1], 3, v[0:1]
	s_clause 0x1
	global_load_b64 v[71:72], v83, s[16:17] offset:4312
	global_load_b64 v[77:78], v83, s[16:17] offset:1848
	v_lshlrev_b64_e32 v[2:3], 3, v[2:3]
	v_add_co_u32 v0, vcc_lo, s10, v0
	v_add_co_ci_u32_e32 v1, vcc_lo, s11, v1, vcc_lo
	s_lshl_b64 s[10:11], s[4:5], 3
	s_delay_alu instid0(VALU_DEP_2) | instskip(SKIP_1) | instid1(VALU_DEP_2)
	v_add_co_u32 v0, vcc_lo, v0, v2
	s_wait_alu 0xfffd
	v_add_co_ci_u32_e32 v1, vcc_lo, v1, v3, vcc_lo
	s_wait_alu 0xfffe
	s_delay_alu instid0(VALU_DEP_2)
	v_add_co_u32 v2, vcc_lo, v0, s10
	global_load_b64 v[4:5], v[0:1], off
	s_wait_alu 0xfffd
	v_add_co_ci_u32_e32 v3, vcc_lo, s11, v1, vcc_lo
	v_add_co_u32 v0, vcc_lo, v2, s10
	s_wait_alu 0xfffd
	s_delay_alu instid0(VALU_DEP_2) | instskip(NEXT) | instid1(VALU_DEP_2)
	v_add_co_ci_u32_e32 v1, vcc_lo, s11, v3, vcc_lo
	v_add_co_u32 v6, vcc_lo, v0, s2
	s_clause 0x1
	global_load_b64 v[2:3], v[2:3], off
	global_load_b64 v[8:9], v[0:1], off
	s_wait_alu 0xfffd
	v_add_co_ci_u32_e32 v7, vcc_lo, s3, v1, vcc_lo
	v_add_co_u32 v10, vcc_lo, v6, s10
	s_wait_alu 0xfffd
	s_delay_alu instid0(VALU_DEP_2)
	v_add_co_ci_u32_e32 v11, vcc_lo, s11, v7, vcc_lo
	global_load_b64 v[6:7], v[6:7], off
	v_add_co_u32 v0, vcc_lo, v10, s10
	s_wait_alu 0xfffd
	v_add_co_ci_u32_e32 v1, vcc_lo, s11, v11, vcc_lo
	v_cmp_gt_u16_e32 vcc_lo, 0x4d, v18
	s_wait_loadcnt 0x3
	v_mul_f32_e32 v14, v5, v74
	global_load_b64 v[10:11], v[10:11], off
	global_load_b64 v[75:76], v83, s[16:17] offset:10472
	global_load_b64 v[12:13], v[0:1], off
	s_load_b64 s[8:9], s[0:1], 0x38
	s_load_b128 s[4:7], s[6:7], 0x0
	v_mul_f32_e32 v15, v4, v74
	v_add_co_u32 v65, s12, s16, v83
	v_fmac_f32_e32 v14, v4, v73
	s_wait_alu 0xf1ff
	v_add_co_ci_u32_e64 v66, null, s17, 0, s12
	s_wait_loadcnt 0x5
	v_mul_f32_e32 v4, v3, v72
	v_fma_f32 v15, v5, v73, -v15
	v_mul_f32_e32 v5, v2, v72
	s_wait_loadcnt 0x4
	v_mul_f32_e32 v16, v9, v68
	v_dual_mul_f32 v17, v8, v68 :: v_dual_fmac_f32 v4, v2, v71
	s_wait_loadcnt 0x3
	v_mul_f32_e32 v2, v7, v78
	v_fma_f32 v5, v3, v71, -v5
	v_dual_mul_f32 v3, v6, v78 :: v_dual_fmac_f32 v16, v8, v67
	v_fma_f32 v17, v9, v67, -v17
	s_delay_alu instid0(VALU_DEP_4) | instskip(NEXT) | instid1(VALU_DEP_3)
	v_fmac_f32_e32 v2, v6, v77
	v_fma_f32 v3, v7, v77, -v3
	s_wait_loadcnt 0x2
	v_mul_f32_e32 v6, v11, v70
	v_mul_f32_e32 v9, v10, v70
	s_wait_loadcnt 0x0
	v_mul_f32_e32 v19, v12, v76
	v_mul_f32_e32 v8, v13, v76
	v_fmac_f32_e32 v6, v10, v69
	v_fma_f32 v7, v11, v69, -v9
	s_delay_alu instid0(VALU_DEP_4) | instskip(NEXT) | instid1(VALU_DEP_4)
	v_fma_f32 v9, v13, v75, -v19
	v_fmac_f32_e32 v8, v12, v75
	ds_store_b64 v83, v[4:5] offset:4312
	ds_store_b64 v83, v[16:17] offset:8624
	ds_store_2addr_b64 v83, v[14:15], v[2:3] offset1:231
	ds_store_b64 v83, v[6:7] offset:6160
	ds_store_b64 v83, v[8:9] offset:10472
	s_and_saveexec_b32 s12, vcc_lo
	s_cbranch_execz .LBB0_3
; %bb.2:
	v_add_co_u32 v0, s2, v0, s2
	s_wait_alu 0xf1ff
	v_add_co_ci_u32_e64 v1, s2, s3, v1, s2
	global_load_b64 v[4:5], v[65:66], off offset:3696
	global_load_b64 v[2:3], v[0:1], off
	v_add_co_u32 v0, s2, v0, s10
	s_wait_alu 0xf1ff
	v_add_co_ci_u32_e64 v1, s2, s11, v1, s2
	s_delay_alu instid0(VALU_DEP_2) | instskip(SKIP_1) | instid1(VALU_DEP_2)
	v_add_co_u32 v6, s2, v0, s10
	s_wait_alu 0xf1ff
	v_add_co_ci_u32_e64 v7, s2, s11, v1, s2
	global_load_b64 v[0:1], v[0:1], off
	s_clause 0x1
	global_load_b64 v[8:9], v[65:66], off offset:8008
	global_load_b64 v[10:11], v[65:66], off offset:12320
	global_load_b64 v[6:7], v[6:7], off
	s_wait_loadcnt 0x4
	v_mul_f32_e32 v12, v3, v5
	v_mul_f32_e32 v13, v2, v5
	s_wait_loadcnt 0x0
	v_mul_f32_e32 v5, v7, v11
	v_mul_f32_e32 v11, v6, v11
	v_fmac_f32_e32 v12, v2, v4
	v_mul_f32_e32 v2, v1, v9
	v_mul_f32_e32 v9, v0, v9
	v_fmac_f32_e32 v5, v6, v10
	v_fma_f32 v6, v7, v10, -v11
	s_delay_alu instid0(VALU_DEP_4)
	v_fmac_f32_e32 v2, v0, v8
	v_fma_f32 v13, v3, v4, -v13
	v_fma_f32 v3, v1, v8, -v9
	ds_store_b64 v83, v[12:13] offset:3696
	ds_store_b64 v83, v[2:3] offset:8008
	ds_store_b64 v83, v[5:6] offset:12320
.LBB0_3:
	s_wait_alu 0xfffe
	s_or_b32 exec_lo, exec_lo, s12
	v_add_nc_u32_e32 v4, 0x1080, v83
	v_add_nc_u32_e32 v5, 0x2100, v83
	global_wb scope:SCOPE_SE
	s_wait_dscnt 0x0
	s_wait_kmcnt 0x0
	s_barrier_signal -1
	s_barrier_wait -1
	global_inv scope:SCOPE_SE
	ds_load_2addr_b64 v[0:3], v83 offset1:231
	ds_load_2addr_b64 v[8:11], v4 offset0:11 offset1:242
	ds_load_2addr_b64 v[4:7], v5 offset0:22 offset1:253
	s_load_b64 s[2:3], s[0:1], 0x8
                                        ; implicit-def: $vgpr12
                                        ; implicit-def: $vgpr14
                                        ; implicit-def: $vgpr16
	s_and_saveexec_b32 s0, vcc_lo
	s_cbranch_execz .LBB0_5
; %bb.4:
	ds_load_b64 v[12:13], v83 offset:3696
	ds_load_b64 v[14:15], v83 offset:8008
	;; [unrolled: 1-line block ×3, first 2 shown]
.LBB0_5:
	s_wait_alu 0xfffe
	s_or_b32 exec_lo, exec_lo, s0
	s_wait_dscnt 0x0
	v_dual_add_f32 v18, v8, v4 :: v_dual_sub_f32 v21, v9, v5
	v_add_nc_u32_e32 v22, 0xe7, v84
	v_dual_add_f32 v19, v0, v8 :: v_dual_add_f32 v24, v1, v9
	s_delay_alu instid0(VALU_DEP_3) | instskip(SKIP_2) | instid1(VALU_DEP_4)
	v_fma_f32 v0, -0.5, v18, v0
	v_add_f32_e32 v9, v9, v5
	v_add_co_u32 v23, null, 0x1ce, v84
	v_add_f32_e32 v18, v19, v4
	s_delay_alu instid0(VALU_DEP_4)
	v_dual_fmamk_f32 v20, v21, 0x3f5db3d7, v0 :: v_dual_add_f32 v19, v24, v5
	v_dual_fmac_f32 v0, 0xbf5db3d7, v21 :: v_dual_add_f32 v5, v2, v10
	v_add_f32_e32 v21, v10, v6
	v_fma_f32 v1, -0.5, v9, v1
	v_dual_sub_f32 v4, v8, v4 :: v_dual_sub_f32 v9, v11, v7
	v_add_f32_e32 v24, v11, v7
	s_delay_alu instid0(VALU_DEP_4) | instskip(SKIP_1) | instid1(VALU_DEP_4)
	v_fma_f32 v2, -0.5, v21, v2
	v_mul_u32_u24_e32 v85, 3, v23
	v_fmamk_f32 v21, v4, 0xbf5db3d7, v1
	v_dual_fmac_f32 v1, 0x3f5db3d7, v4 :: v_dual_add_f32 v4, v5, v6
	s_delay_alu instid0(VALU_DEP_4) | instskip(SKIP_2) | instid1(VALU_DEP_3)
	v_dual_fmamk_f32 v8, v9, 0x3f5db3d7, v2 :: v_dual_add_f32 v5, v3, v11
	v_dual_fmac_f32 v3, -0.5, v24 :: v_dual_sub_f32 v6, v10, v6
	v_dual_add_f32 v10, v14, v16 :: v_dual_add_f32 v11, v15, v17
	v_dual_fmac_f32 v2, 0xbf5db3d7, v9 :: v_dual_add_f32 v5, v5, v7
	v_sub_f32_e32 v7, v15, v17
	s_delay_alu instid0(VALU_DEP_3)
	v_fma_f32 v48, -0.5, v10, v12
	v_sub_f32_e32 v10, v14, v16
	v_fma_f32 v49, -0.5, v11, v13
	v_mul_lo_u16 v11, v84, 3
	v_fmamk_f32 v9, v6, 0xbf5db3d7, v3
	v_dual_fmac_f32 v3, 0x3f5db3d7, v6 :: v_dual_fmamk_f32 v54, v7, 0x3f5db3d7, v48
	v_fmac_f32_e32 v48, 0xbf5db3d7, v7
	s_delay_alu instid0(VALU_DEP_4)
	v_and_b32_e32 v6, 0xffff, v11
	v_mul_u32_u24_e32 v7, 3, v22
	v_fmamk_f32 v55, v10, 0xbf5db3d7, v49
	v_fmac_f32_e32 v49, 0x3f5db3d7, v10
	global_wb scope:SCOPE_SE
	v_lshlrev_b32_e32 v87, 3, v6
	v_lshlrev_b32_e32 v86, 3, v7
	s_wait_kmcnt 0x0
	s_barrier_signal -1
	s_barrier_wait -1
	global_inv scope:SCOPE_SE
	ds_store_2addr_b64 v87, v[18:19], v[20:21] offset1:1
	ds_store_b64 v87, v[0:1] offset:16
	ds_store_2addr_b64 v86, v[4:5], v[8:9] offset1:1
	ds_store_b64 v86, v[2:3] offset:16
	s_and_saveexec_b32 s0, vcc_lo
	s_cbranch_execz .LBB0_7
; %bb.6:
	v_dual_add_f32 v0, v13, v15 :: v_dual_lshlrev_b32 v3, 3, v85
	v_add_f32_e32 v2, v12, v14
	s_delay_alu instid0(VALU_DEP_1)
	v_dual_add_f32 v1, v0, v17 :: v_dual_add_f32 v0, v2, v16
	ds_store_2addr_b64 v3, v[0:1], v[54:55] offset1:1
	ds_store_b64 v3, v[48:49] offset:16
.LBB0_7:
	s_wait_alu 0xfffe
	s_or_b32 exec_lo, exec_lo, s0
	v_and_b32_e32 v12, 0xff, v84
	global_wb scope:SCOPE_SE
	s_wait_dscnt 0x0
	s_barrier_signal -1
	s_barrier_wait -1
	global_inv scope:SCOPE_SE
	v_mul_lo_u16 v0, 0xab, v12
	v_mul_lo_u16 v12, 0x87, v12
	v_cmp_gt_u16_e64 s0, 0x93, v84
                                        ; implicit-def: $vgpr79
	s_delay_alu instid0(VALU_DEP_3) | instskip(NEXT) | instid1(VALU_DEP_3)
	v_lshrrev_b16 v20, 9, v0
	v_lshrrev_b16 v12, 8, v12
	s_delay_alu instid0(VALU_DEP_2) | instskip(NEXT) | instid1(VALU_DEP_2)
	v_mul_lo_u16 v0, v20, 3
	v_sub_nc_u16 v13, v84, v12
	s_delay_alu instid0(VALU_DEP_2) | instskip(NEXT) | instid1(VALU_DEP_2)
	v_sub_nc_u16 v0, v84, v0
	v_lshrrev_b16 v13, 1, v13
	s_delay_alu instid0(VALU_DEP_2) | instskip(NEXT) | instid1(VALU_DEP_1)
	v_and_b32_e32 v26, 0xff, v0
	v_mul_u32_u24_e32 v0, 6, v26
	s_delay_alu instid0(VALU_DEP_1)
	v_lshlrev_b32_e32 v0, 3, v0
	s_clause 0x2
	global_load_b128 v[8:11], v0, s[2:3]
	global_load_b128 v[4:7], v0, s[2:3] offset:16
	global_load_b128 v[0:3], v0, s[2:3] offset:32
	v_add_nc_u32_e32 v28, 0xe00, v83
	v_add_nc_u32_e32 v32, 0x1c80, v83
	v_and_b32_e32 v24, 0xffff, v20
	ds_load_2addr_b64 v[16:19], v28 offset0:14 offset1:245
	s_wait_loadcnt_dscnt 0x200
	v_dual_mul_f32 v30, v16, v11 :: v_dual_and_b32 v13, 0x7f, v13
	s_delay_alu instid0(VALU_DEP_1) | instskip(SKIP_2) | instid1(VALU_DEP_2)
	v_add_nc_u16 v12, v13, v12
	s_wait_loadcnt 0x1
	v_mul_f32_e32 v31, v19, v5
	v_lshrrev_b16 v21, 4, v12
	ds_load_2addr_b64 v[12:15], v83 offset1:231
	v_and_b32_e32 v33, 15, v21
	ds_load_2addr_b64 v[20:23], v32 offset0:12 offset1:243
	s_wait_dscnt 0x0
	v_mul_f32_e32 v36, v20, v7
	v_mul_f32_e32 v35, v21, v7
	v_mul_u32_u24_e32 v27, 21, v24
	ds_load_b64 v[24:25], v83 offset:11088
	v_mul_lo_u16 v29, v33, 21
	s_wait_loadcnt 0x0
	v_mul_f32_e32 v37, v23, v1
	v_mul_f32_e32 v39, v22, v1
	v_add_lshl_u32 v88, v27, v26, 3
	v_mul_f32_e32 v27, v14, v9
	v_sub_nc_u16 v26, v84, v29
	v_dual_mul_f32 v29, v17, v11 :: v_dual_mul_f32 v34, v18, v5
	global_wb scope:SCOPE_SE
	s_wait_dscnt 0x0
	v_dual_fmac_f32 v27, v15, v8 :: v_dual_and_b32 v38, 0xff, v26
	s_barrier_signal -1
	s_barrier_wait -1
	global_inv scope:SCOPE_SE
	v_fmac_f32_e32 v39, v23, v0
	v_dual_mul_f32 v41, v24, v3 :: v_dual_mul_f32 v26, v15, v9
	v_mul_f32_e32 v40, v25, v3
	v_fma_f32 v15, v16, v10, -v29
	v_fma_f32 v16, v18, v4, -v31
	s_delay_alu instid0(VALU_DEP_4) | instskip(SKIP_3) | instid1(VALU_DEP_4)
	v_fmac_f32_e32 v41, v25, v2
	v_fma_f32 v14, v14, v8, -v26
	v_fmac_f32_e32 v30, v17, v10
	v_fma_f32 v18, v24, v2, -v40
	v_dual_fmac_f32 v36, v21, v6 :: v_dual_add_f32 v21, v27, v41
	s_delay_alu instid0(VALU_DEP_3) | instskip(SKIP_3) | instid1(VALU_DEP_3)
	v_dual_fmac_f32 v34, v19, v4 :: v_dual_add_f32 v23, v30, v39
	v_fma_f32 v19, v22, v0, -v37
	v_fma_f32 v17, v20, v6, -v35
	v_add_f32_e32 v20, v14, v18
	v_add_f32_e32 v22, v15, v19
	v_sub_f32_e32 v15, v15, v19
	v_add_f32_e32 v25, v34, v36
	v_sub_f32_e32 v14, v14, v18
	v_dual_sub_f32 v18, v27, v41 :: v_dual_sub_f32 v19, v30, v39
	v_add_f32_e32 v27, v23, v21
	v_dual_add_f32 v24, v16, v17 :: v_dual_sub_f32 v29, v22, v20
	v_dual_sub_f32 v16, v17, v16 :: v_dual_sub_f32 v17, v36, v34
	v_add_f32_e32 v26, v22, v20
	v_sub_f32_e32 v30, v23, v21
	s_delay_alu instid0(VALU_DEP_4)
	v_dual_sub_f32 v20, v20, v24 :: v_dual_sub_f32 v21, v21, v25
	v_dual_sub_f32 v22, v24, v22 :: v_dual_sub_f32 v23, v25, v23
	v_add_f32_e32 v25, v25, v27
	v_add_f32_e32 v31, v16, v15
	;; [unrolled: 1-line block ×3, first 2 shown]
	v_dual_sub_f32 v35, v16, v15 :: v_dual_sub_f32 v16, v14, v16
	v_sub_f32_e32 v15, v15, v14
	v_dual_add_f32 v24, v24, v26 :: v_dual_mul_f32 v21, 0x3f4a47b2, v21
	v_dual_sub_f32 v36, v17, v19 :: v_dual_sub_f32 v19, v19, v18
	v_dual_sub_f32 v17, v18, v17 :: v_dual_add_f32 v14, v31, v14
	v_dual_mul_f32 v27, 0x3d64c772, v23 :: v_dual_add_f32 v18, v34, v18
	v_mul_f32_e32 v31, 0xbf08b237, v35
	v_dual_mul_f32 v20, 0x3f4a47b2, v20 :: v_dual_add_f32 v13, v13, v25
	v_dual_mul_f32 v26, 0x3d64c772, v22 :: v_dual_fmamk_f32 v23, v23, 0x3d64c772, v21
	v_dual_mul_f32 v35, 0x3f5ff5aa, v15 :: v_dual_add_f32 v12, v12, v24
	v_fma_f32 v27, 0x3f3bfb3b, v30, -v27
	s_delay_alu instid0(VALU_DEP_4) | instskip(NEXT) | instid1(VALU_DEP_4)
	v_fmamk_f32 v22, v22, 0x3d64c772, v20
	v_fma_f32 v26, 0x3f3bfb3b, v29, -v26
	v_fma_f32 v20, 0xbf3bfb3b, v29, -v20
	v_fmamk_f32 v29, v16, 0x3eae86e6, v31
	v_fma_f32 v31, 0x3f5ff5aa, v15, -v31
	v_fma_f32 v35, 0xbeae86e6, v16, -v35
	v_dual_fmamk_f32 v15, v24, 0xbf955555, v12 :: v_dual_fmamk_f32 v16, v25, 0xbf955555, v13
	v_mul_f32_e32 v34, 0xbf08b237, v36
	v_mul_f32_e32 v36, 0x3f5ff5aa, v19
	v_fma_f32 v21, 0xbf3bfb3b, v30, -v21
	v_fmac_f32_e32 v31, 0x3ee1c552, v14
	v_add_f32_e32 v25, v23, v16
	v_dual_add_f32 v23, v20, v15 :: v_dual_fmamk_f32 v30, v17, 0x3eae86e6, v34
	v_fma_f32 v34, 0x3f5ff5aa, v19, -v34
	v_fma_f32 v36, 0xbeae86e6, v17, -v36
	v_dual_fmac_f32 v29, 0x3ee1c552, v14 :: v_dual_add_f32 v24, v22, v15
	v_dual_fmac_f32 v35, 0x3ee1c552, v14 :: v_dual_add_f32 v22, v26, v15
	v_add_f32_e32 v26, v21, v16
	v_dual_fmac_f32 v34, 0x3ee1c552, v18 :: v_dual_add_f32 v21, v27, v16
	v_fmac_f32_e32 v36, 0x3ee1c552, v18
	v_dual_fmac_f32 v30, 0x3ee1c552, v18 :: v_dual_sub_f32 v15, v25, v29
	s_delay_alu instid0(VALU_DEP_4) | instskip(NEXT) | instid1(VALU_DEP_4)
	v_sub_f32_e32 v17, v26, v35
	v_dual_sub_f32 v18, v22, v34 :: v_dual_add_f32 v25, v29, v25
	s_delay_alu instid0(VALU_DEP_4)
	v_dual_add_f32 v19, v31, v21 :: v_dual_add_f32 v16, v36, v23
	v_dual_add_f32 v20, v34, v22 :: v_dual_and_b32 v39, 0xffff, v33
	v_sub_f32_e32 v22, v23, v36
	v_add_f32_e32 v23, v35, v26
	v_mad_co_u64_u32 v[26:27], null, v38, 48, s[2:3]
	v_dual_add_f32 v14, v30, v24 :: v_dual_sub_f32 v21, v21, v31
	v_sub_f32_e32 v24, v24, v30
	ds_store_2addr_b64 v88, v[12:13], v[14:15] offset1:3
	ds_store_2addr_b64 v88, v[16:17], v[18:19] offset0:6 offset1:9
	ds_store_2addr_b64 v88, v[20:21], v[22:23] offset0:12 offset1:15
	ds_store_b64 v88, v[24:25] offset:144
	global_wb scope:SCOPE_SE
	s_wait_dscnt 0x0
	s_barrier_signal -1
	s_barrier_wait -1
	global_inv scope:SCOPE_SE
	s_clause 0x2
	global_load_b128 v[20:23], v[26:27], off offset:144
	global_load_b128 v[16:19], v[26:27], off offset:160
	;; [unrolled: 1-line block ×3, first 2 shown]
	ds_load_2addr_b64 v[24:27], v83 offset1:231
	ds_load_2addr_b64 v[28:31], v28 offset0:14 offset1:245
	ds_load_2addr_b64 v[32:35], v32 offset0:12 offset1:243
	ds_load_b64 v[36:37], v83 offset:11088
	v_mul_u32_u24_e32 v39, 0x93, v39
	global_wb scope:SCOPE_SE
	s_wait_loadcnt_dscnt 0x0
	s_barrier_signal -1
	s_barrier_wait -1
	global_inv scope:SCOPE_SE
	v_add_lshl_u32 v89, v39, v38, 3
	v_dual_mul_f32 v38, v27, v21 :: v_dual_mul_f32 v41, v28, v23
	v_dual_mul_f32 v39, v26, v21 :: v_dual_mul_f32 v40, v29, v23
	v_mul_f32_e32 v47, v34, v13
	v_dual_mul_f32 v42, v31, v17 :: v_dual_mul_f32 v45, v32, v19
	v_mul_f32_e32 v43, v30, v17
	;; [unrolled: 2-line block ×3, first 2 shown]
	v_dual_mul_f32 v44, v33, v19 :: v_dual_fmac_f32 v39, v27, v20
	v_fma_f32 v26, v26, v20, -v38
	v_fma_f32 v27, v28, v22, -v40
	;; [unrolled: 1-line block ×3, first 2 shown]
	v_fmac_f32_e32 v43, v31, v16
	v_fma_f32 v30, v36, v14, -v50
	v_fma_f32 v31, v34, v12, -v46
	v_fmac_f32_e32 v51, v37, v14
	v_fmac_f32_e32 v47, v35, v12
	s_delay_alu instid0(VALU_DEP_3)
	v_dual_add_f32 v34, v27, v31 :: v_dual_fmac_f32 v41, v29, v22
	v_fma_f32 v29, v32, v18, -v44
	v_fmac_f32_e32 v45, v33, v18
	v_dual_add_f32 v32, v26, v30 :: v_dual_add_f32 v33, v39, v51
	v_sub_f32_e32 v26, v26, v30
	v_sub_f32_e32 v30, v39, v51
	s_delay_alu instid0(VALU_DEP_3) | instskip(SKIP_3) | instid1(VALU_DEP_3)
	v_dual_add_f32 v35, v41, v47 :: v_dual_add_f32 v38, v34, v32
	v_dual_sub_f32 v27, v27, v31 :: v_dual_add_f32 v36, v28, v29
	v_dual_sub_f32 v28, v29, v28 :: v_dual_add_f32 v37, v43, v45
	v_dual_sub_f32 v31, v41, v47 :: v_dual_sub_f32 v40, v34, v32
	v_dual_sub_f32 v29, v45, v43 :: v_dual_sub_f32 v34, v36, v34
	s_delay_alu instid0(VALU_DEP_3)
	v_dual_add_f32 v39, v35, v33 :: v_dual_add_f32 v42, v28, v27
	v_dual_sub_f32 v41, v35, v33 :: v_dual_sub_f32 v44, v28, v27
	v_dual_sub_f32 v32, v32, v36 :: v_dual_sub_f32 v33, v33, v37
	;; [unrolled: 1-line block ×3, first 2 shown]
	v_dual_add_f32 v36, v36, v38 :: v_dual_add_f32 v43, v29, v31
	v_sub_f32_e32 v27, v27, v26
	v_dual_add_f32 v37, v37, v39 :: v_dual_mul_f32 v38, 0x3d64c772, v34
	v_dual_add_f32 v26, v42, v26 :: v_dual_sub_f32 v45, v29, v31
	v_dual_sub_f32 v29, v30, v29 :: v_dual_mul_f32 v32, 0x3f4a47b2, v32
	v_mul_f32_e32 v33, 0x3f4a47b2, v33
	v_mul_f32_e32 v42, 0xbf08b237, v44
	v_dual_add_f32 v44, v24, v36 :: v_dual_sub_f32 v31, v31, v30
	v_mul_f32_e32 v46, 0x3f5ff5aa, v27
	v_dual_add_f32 v30, v43, v30 :: v_dual_mul_f32 v39, 0x3d64c772, v35
	v_fmamk_f32 v24, v34, 0x3d64c772, v32
	s_delay_alu instid0(VALU_DEP_4)
	v_fmamk_f32 v36, v36, 0xbf955555, v44
	v_mul_f32_e32 v43, 0xbf08b237, v45
	v_add_f32_e32 v45, v25, v37
	v_fma_f32 v34, 0x3f3bfb3b, v40, -v38
	v_fmamk_f32 v38, v28, 0x3eae86e6, v42
	v_fma_f32 v27, 0x3f5ff5aa, v27, -v42
	v_fma_f32 v28, 0xbeae86e6, v28, -v46
	v_fmamk_f32 v37, v37, 0xbf955555, v45
	v_dual_mul_f32 v47, 0x3f5ff5aa, v31 :: v_dual_add_f32 v24, v24, v36
	v_fma_f32 v31, 0x3f5ff5aa, v31, -v43
	v_fma_f32 v32, 0xbf3bfb3b, v40, -v32
	v_fmamk_f32 v25, v35, 0x3d64c772, v33
	v_fma_f32 v35, 0x3f3bfb3b, v41, -v39
	v_fma_f32 v33, 0xbf3bfb3b, v41, -v33
	v_fmac_f32_e32 v38, 0x3ee1c552, v26
	v_fmac_f32_e32 v27, 0x3ee1c552, v26
	;; [unrolled: 1-line block ×4, first 2 shown]
	v_dual_add_f32 v26, v34, v36 :: v_dual_fmamk_f32 v39, v29, 0x3eae86e6, v43
	v_fma_f32 v29, 0xbeae86e6, v29, -v47
	s_delay_alu instid0(VALU_DEP_2) | instskip(NEXT) | instid1(VALU_DEP_2)
	v_dual_sub_f32 v58, v26, v31 :: v_dual_fmac_f32 v39, 0x3ee1c552, v30
	v_dual_fmac_f32 v29, 0x3ee1c552, v30 :: v_dual_add_f32 v30, v32, v36
	v_add_f32_e32 v25, v25, v37
	v_add_f32_e32 v32, v33, v37
	s_delay_alu instid0(VALU_DEP_4) | instskip(NEXT) | instid1(VALU_DEP_3)
	v_dual_sub_f32 v52, v24, v39 :: v_dual_add_f32 v33, v35, v37
	v_dual_add_f32 v46, v39, v24 :: v_dual_sub_f32 v47, v25, v38
	s_delay_alu instid0(VALU_DEP_3) | instskip(NEXT) | instid1(VALU_DEP_3)
	v_dual_add_f32 v56, v29, v30 :: v_dual_sub_f32 v57, v32, v28
	v_add_f32_e32 v59, v27, v33
	v_dual_sub_f32 v61, v33, v27 :: v_dual_sub_f32 v62, v30, v29
	v_dual_add_f32 v60, v31, v26 :: v_dual_add_f32 v63, v28, v32
	v_add_f32_e32 v53, v38, v25
	ds_store_2addr_b64 v89, v[44:45], v[46:47] offset1:21
	ds_store_2addr_b64 v89, v[56:57], v[58:59] offset0:42 offset1:63
	ds_store_2addr_b64 v89, v[60:61], v[62:63] offset0:84 offset1:105
	ds_store_b64 v89, v[52:53] offset:1008
	global_wb scope:SCOPE_SE
	s_wait_dscnt 0x0
	s_barrier_signal -1
	s_barrier_wait -1
	global_inv scope:SCOPE_SE
	s_and_saveexec_b32 s1, s0
	s_cbranch_execz .LBB0_9
; %bb.8:
	v_add_nc_u32_e32 v24, 0x800, v83
	v_add_nc_u32_e32 v25, 0x1000, v83
	;; [unrolled: 1-line block ×4, first 2 shown]
	ds_load_2addr_b64 v[44:47], v83 offset1:147
	ds_load_2addr_b64 v[56:59], v24 offset0:38 offset1:185
	ds_load_2addr_b64 v[60:63], v25 offset0:76 offset1:223
	;; [unrolled: 1-line block ×4, first 2 shown]
	ds_load_b64 v[79:80], v83 offset:11760
.LBB0_9:
	s_wait_alu 0xfffe
	s_or_b32 exec_lo, exec_lo, s1
	v_add_nc_u32_e32 v24, 0xffffff6d, v84
	s_delay_alu instid0(VALU_DEP_1) | instskip(NEXT) | instid1(VALU_DEP_1)
	v_cndmask_b32_e64 v24, v24, v84, s0
	v_mul_i32_i24_e32 v25, 0x50, v24
	v_mul_hi_i32_i24_e32 v24, 0x50, v24
	s_delay_alu instid0(VALU_DEP_2) | instskip(SKIP_1) | instid1(VALU_DEP_2)
	v_add_co_u32 v40, s1, s2, v25
	s_wait_alu 0xf1ff
	v_add_co_ci_u32_e64 v41, s1, s3, v24, s1
	s_clause 0x4
	global_load_b128 v[36:39], v[40:41], off offset:1152
	global_load_b128 v[32:35], v[40:41], off offset:1168
	;; [unrolled: 1-line block ×5, first 2 shown]
	s_wait_loadcnt_dscnt 0x405
	v_mul_f32_e32 v81, v47, v37
	s_wait_dscnt 0x4
	v_dual_mul_f32 v99, v46, v37 :: v_dual_mul_f32 v82, v57, v39
	s_wait_loadcnt_dscnt 0x202
	v_dual_mul_f32 v104, v63, v25 :: v_dual_mul_f32 v105, v53, v27
	s_wait_loadcnt_dscnt 0x0
	v_dual_mul_f32 v108, v51, v41 :: v_dual_mul_f32 v109, v80, v43
	v_dual_mul_f32 v90, v50, v41 :: v_dual_mul_f32 v91, v79, v43
	;; [unrolled: 1-line block ×5, first 2 shown]
	v_dual_mul_f32 v92, v48, v31 :: v_dual_fmac_f32 v99, v47, v36
	v_fma_f32 v102, v46, v36, -v81
	v_fma_f32 v101, v56, v38, -v82
	;; [unrolled: 1-line block ×4, first 2 shown]
	v_dual_fmac_f32 v91, v80, v42 :: v_dual_fmac_f32 v90, v51, v40
	v_dual_mul_f32 v100, v59, v33 :: v_dual_mul_f32 v103, v61, v35
	v_dual_mul_f32 v106, v55, v29 :: v_dual_mul_f32 v107, v49, v31
	v_dual_fmac_f32 v98, v57, v38 :: v_dual_fmac_f32 v97, v59, v32
	v_dual_fmac_f32 v96, v61, v34 :: v_dual_fmac_f32 v95, v63, v24
	v_fma_f32 v57, v62, v24, -v104
	v_dual_fmac_f32 v94, v53, v26 :: v_dual_fmac_f32 v93, v55, v28
	v_dual_sub_f32 v46, v102, v52 :: v_dual_sub_f32 v47, v99, v91
	v_fma_f32 v100, v58, v32, -v100
	v_fma_f32 v53, v48, v30, -v107
	v_dual_fmac_f32 v92, v49, v30 :: v_dual_add_f32 v117, v102, v52
	v_fma_f32 v50, v50, v40, -v108
	s_delay_alu instid0(VALU_DEP_3) | instskip(SKIP_1) | instid1(VALU_DEP_3)
	v_dual_sub_f32 v49, v98, v90 :: v_dual_add_f32 v122, v100, v53
	v_dual_add_f32 v129, v57, v56 :: v_dual_sub_f32 v82, v95, v94
	v_dual_mul_f32 v151, 0xbe903f40, v47 :: v_dual_add_f32 v120, v101, v50
	v_dual_add_f32 v127, v96, v93 :: v_dual_sub_f32 v48, v101, v50
	v_mul_f32_e32 v105, 0xbf0a6770, v47
	v_dual_sub_f32 v81, v57, v56 :: v_dual_mul_f32 v116, 0xbf68dda4, v46
	v_dual_mul_f32 v108, 0x3f0a6770, v82 :: v_dual_mul_f32 v149, 0x3f0a6770, v49
	s_delay_alu instid0(VALU_DEP_4)
	v_mul_f32_e32 v156, 0x3f0a6770, v48
	v_fmamk_f32 v188, v117, 0xbf75a155, v151
	v_fma_f32 v58, v60, v34, -v103
	v_fma_f32 v54, v54, v28, -v106
	v_dual_add_f32 v118, v99, v91 :: v_dual_add_f32 v121, v98, v90
	v_dual_add_f32 v123, v97, v92 :: v_dual_sub_f32 v62, v100, v53
	s_delay_alu instid0(VALU_DEP_3)
	v_dual_sub_f32 v63, v97, v92 :: v_dual_add_f32 v126, v58, v54
	v_dual_mul_f32 v111, 0xbf4178ce, v49 :: v_dual_mul_f32 v142, 0xbf4178ce, v47
	v_mul_f32_e32 v119, 0x3f0a6770, v81
	v_dual_mul_f32 v133, 0xbf4178ce, v81 :: v_dual_add_f32 v188, v44, v188
	v_dual_fmamk_f32 v166, v129, 0x3f575c64, v108 :: v_dual_fmamk_f32 v189, v120, 0x3f575c64, v149
	v_mul_f32_e32 v157, 0xbe903f40, v46
	v_dual_sub_f32 v79, v58, v54 :: v_dual_sub_f32 v80, v96, v93
	v_dual_mul_f32 v103, 0xbf68dda4, v49 :: v_dual_mul_f32 v106, 0xbf68dda4, v48
	v_dual_mul_f32 v115, 0xbf4178ce, v48 :: v_dual_mul_f32 v152, 0xbf4178ce, v63
	;; [unrolled: 1-line block ×3, first 2 shown]
	s_delay_alu instid0(VALU_DEP_4)
	v_dual_mul_f32 v136, 0x3f68dda4, v62 :: v_dual_mul_f32 v155, 0x3f68dda4, v79
	v_fmamk_f32 v178, v117, 0xbf27a4f4, v142
	v_fma_f32 v190, 0xbf75a155, v118, -v157
	v_mul_f32_e32 v141, 0x3f7d64f0, v49
	v_dual_mul_f32 v107, 0xbf0a6770, v46 :: v_dual_mul_f32 v124, 0xbf0a6770, v80
	v_dual_mul_f32 v104, 0xbf7d64f0, v62 :: v_dual_mul_f32 v153, 0xbf7d64f0, v81
	;; [unrolled: 1-line block ×4, first 2 shown]
	v_dual_mul_f32 v59, 0xbe903f40, v81 :: v_dual_add_f32 v178, v44, v178
	v_fma_f32 v170, 0xbe11bafb, v118, -v137
	v_mul_f32_e32 v109, 0x3f7d64f0, v80
	v_fma_f32 v173, 0x3ed4b147, v123, -v136
	v_mul_f32_e32 v150, 0x3f68dda4, v80
	v_fma_f32 v191, 0x3f575c64, v121, -v156
	v_add_f32_e32 v190, v45, v190
	v_mul_f32_e32 v144, 0x3f68dda4, v81
	v_fmamk_f32 v81, v122, 0xbe11bafb, v60
	v_mul_f32_e32 v139, 0xbe903f40, v80
	v_fma_f32 v80, 0xbf27a4f4, v121, -v115
	v_mul_f32_e32 v130, 0x3f68dda4, v63
	v_fmamk_f32 v179, v120, 0xbe11bafb, v141
	v_mul_f32_e32 v138, 0xbf0a6770, v63
	v_fma_f32 v63, 0x3ed4b147, v121, -v106
	v_mul_f32_e32 v128, 0x3e903f40, v49
	v_fma_f32 v49, 0x3ed4b147, v118, -v116
	v_dual_add_f32 v131, v95, v94 :: v_dual_mul_f32 v112, 0xbf68dda4, v47
	v_mul_f32_e32 v132, 0xbf7d64f0, v47
	v_fma_f32 v47, 0x3f575c64, v118, -v107
	s_delay_alu instid0(VALU_DEP_4) | instskip(NEXT) | instid1(VALU_DEP_4)
	v_dual_add_f32 v49, v45, v49 :: v_dual_mul_f32 v114, 0x3e903f40, v62
	v_fma_f32 v167, 0x3f575c64, v131, -v119
	s_delay_alu instid0(VALU_DEP_3) | instskip(NEXT) | instid1(VALU_DEP_3)
	v_dual_fmamk_f32 v192, v122, 0xbf27a4f4, v152 :: v_dual_add_f32 v47, v45, v47
	v_add_f32_e32 v49, v80, v49
	s_delay_alu instid0(VALU_DEP_4) | instskip(SKIP_3) | instid1(VALU_DEP_4)
	v_fma_f32 v163, 0xbf75a155, v123, -v114
	v_mul_f32_e32 v140, 0x3f68dda4, v82
	v_fma_f32 v161, 0xbf75a155, v131, -v59
	v_dual_add_f32 v47, v63, v47 :: v_dual_mul_f32 v146, 0xbf0a6770, v62
	v_dual_add_f32 v49, v163, v49 :: v_dual_fmamk_f32 v62, v120, 0x3ed4b147, v103
	v_mul_f32_e32 v145, 0x3f7d64f0, v48
	v_fmamk_f32 v48, v117, 0x3ed4b147, v112
	v_mul_f32_e32 v113, 0x3f7d64f0, v79
	v_fmamk_f32 v169, v120, 0xbf75a155, v128
	v_fmamk_f32 v172, v122, 0x3ed4b147, v130
	v_fma_f32 v171, 0xbf75a155, v121, -v135
	v_add_f32_e32 v48, v44, v48
	v_fma_f32 v165, 0xbe11bafb, v127, -v113
	v_mul_f32_e32 v147, 0xbf4178ce, v46
	v_fmamk_f32 v46, v117, 0x3f575c64, v105
	v_dual_mul_f32 v61, 0xbf4178ce, v79 :: v_dual_add_f32 v170, v45, v170
	s_delay_alu instid0(VALU_DEP_4) | instskip(SKIP_4) | instid1(VALU_DEP_4)
	v_add_f32_e32 v49, v165, v49
	v_fmamk_f32 v168, v117, 0xbe11bafb, v132
	v_mul_f32_e32 v51, 0xbe903f40, v82
	v_add_f32_e32 v46, v44, v46
	v_dual_mul_f32 v134, 0xbf0a6770, v79 :: v_dual_add_f32 v63, v171, v170
	v_add_f32_e32 v168, v44, v168
	s_delay_alu instid0(VALU_DEP_4) | instskip(NEXT) | instid1(VALU_DEP_4)
	v_fmamk_f32 v160, v129, 0xbf75a155, v51
	v_dual_mul_f32 v143, 0xbe903f40, v79 :: v_dual_add_f32 v46, v62, v46
	v_fma_f32 v181, 0xbe11bafb, v121, -v145
	s_delay_alu instid0(VALU_DEP_4)
	v_add_f32_e32 v62, v169, v168
	v_fma_f32 v159, 0xbf27a4f4, v127, -v61
	v_fma_f32 v175, 0x3f575c64, v127, -v134
	;; [unrolled: 1-line block ×3, first 2 shown]
	v_add_f32_e32 v168, v189, v188
	v_add_f32_e32 v62, v172, v62
	;; [unrolled: 1-line block ×3, first 2 shown]
	v_fmamk_f32 v184, v126, 0xbf75a155, v139
	v_fmamk_f32 v162, v122, 0xbf75a155, v110
	;; [unrolled: 1-line block ×3, first 2 shown]
	v_add_f32_e32 v169, v191, v190
	v_dual_add_f32 v63, v173, v63 :: v_dual_fmamk_f32 v158, v126, 0xbf27a4f4, v55
	v_fma_f32 v177, 0xbf27a4f4, v131, -v133
	s_delay_alu instid0(VALU_DEP_4)
	v_add_f32_e32 v48, v79, v48
	v_fma_f32 v180, 0xbf27a4f4, v118, -v147
	v_mul_f32_e32 v125, 0xbf4178ce, v82
	v_dual_add_f32 v79, v179, v178 :: v_dual_fmamk_f32 v182, v122, 0x3f575c64, v138
	v_mul_f32_e32 v148, 0xbf7d64f0, v82
	v_fma_f32 v82, 0xbe11bafb, v123, -v104
	v_add_f32_e32 v180, v45, v180
	v_fma_f32 v185, 0xbf75a155, v127, -v143
	v_add_f32_e32 v79, v182, v79
	v_fmamk_f32 v194, v126, 0x3ed4b147, v150
	v_add_f32_e32 v47, v82, v47
	v_fma_f32 v183, 0x3f575c64, v123, -v146
	v_add_f32_e32 v80, v181, v180
	v_fma_f32 v195, 0x3ed4b147, v127, -v155
	v_dual_add_f32 v81, v192, v168 :: v_dual_add_f32 v82, v193, v169
	v_fmamk_f32 v164, v126, 0xbe11bafb, v109
	s_delay_alu instid0(VALU_DEP_4)
	v_add_f32_e32 v80, v183, v80
	v_add_f32_e32 v47, v159, v47
	;; [unrolled: 1-line block ×3, first 2 shown]
	v_dual_add_f32 v163, v195, v82 :: v_dual_fmamk_f32 v174, v126, 0x3f575c64, v124
	v_dual_add_f32 v79, v184, v79 :: v_dual_add_f32 v48, v162, v48
	v_fmamk_f32 v186, v129, 0x3ed4b147, v140
	v_fmamk_f32 v176, v129, 0xbf27a4f4, v125
	v_fma_f32 v187, 0x3ed4b147, v131, -v144
	v_fmamk_f32 v196, v129, 0xbe11bafb, v148
	v_fma_f32 v197, 0xbe11bafb, v131, -v153
	v_add_f32_e32 v46, v158, v46
	v_add_f32_e32 v48, v164, v48
	v_add_f32_e32 v80, v185, v80
	v_add_f32_e32 v162, v194, v81
	v_add_f32_e32 v81, v186, v79
	v_add_f32_e32 v63, v161, v47
	v_add_f32_e32 v47, v167, v49
	v_dual_add_f32 v49, v177, v159 :: v_dual_add_f32 v158, v174, v62
	v_add_f32_e32 v62, v160, v46
	v_add_f32_e32 v46, v166, v48
	v_dual_add_f32 v82, v187, v80 :: v_dual_add_f32 v79, v196, v162
	s_delay_alu instid0(VALU_DEP_4)
	v_add_f32_e32 v48, v176, v158
	v_add_f32_e32 v80, v197, v163
	s_and_saveexec_b32 s1, s0
	s_cbranch_execz .LBB0_11
; %bb.10:
	v_dual_mul_f32 v158, 0x3f575c64, v117 :: v_dual_mul_f32 v159, 0x3f575c64, v118
	v_dual_mul_f32 v160, 0x3ed4b147, v117 :: v_dual_mul_f32 v161, 0x3ed4b147, v118
	;; [unrolled: 1-line block ×10, first 2 shown]
	v_add_f32_e32 v118, v157, v118
	v_dual_mul_f32 v174, 0xbe11bafb, v122 :: v_dual_mul_f32 v175, 0xbe11bafb, v123
	v_dual_mul_f32 v176, 0xbf75a155, v122 :: v_dual_mul_f32 v177, 0xbf75a155, v123
	;; [unrolled: 1-line block ×9, first 2 shown]
	v_dual_mul_f32 v126, 0x3ed4b147, v126 :: v_dual_add_f32 v121, v156, v121
	v_dual_mul_f32 v127, 0x3ed4b147, v127 :: v_dual_add_f32 v118, v45, v118
	v_dual_mul_f32 v191, 0x3f575c64, v131 :: v_dual_mul_f32 v156, 0x3f575c64, v129
	v_dual_sub_f32 v117, v117, v151 :: v_dual_mul_f32 v192, 0xbf27a4f4, v129
	s_delay_alu instid0(VALU_DEP_3) | instskip(SKIP_2) | instid1(VALU_DEP_4)
	v_dual_add_f32 v118, v121, v118 :: v_dual_add_f32 v121, v154, v123
	v_mul_f32_e32 v123, 0xbf27a4f4, v131
	v_mul_f32_e32 v151, 0x3ed4b147, v129
	v_add_f32_e32 v117, v44, v117
	v_sub_f32_e32 v120, v120, v149
	v_dual_add_f32 v118, v121, v118 :: v_dual_add_f32 v121, v155, v127
	v_mul_f32_e32 v127, 0xbe11bafb, v131
	v_dual_mul_f32 v157, 0xbf75a155, v129 :: v_dual_mul_f32 v190, 0xbf75a155, v131
	s_delay_alu instid0(VALU_DEP_3) | instskip(NEXT) | instid1(VALU_DEP_3)
	v_dual_mul_f32 v131, 0x3ed4b147, v131 :: v_dual_add_f32 v118, v121, v118
	v_add_f32_e32 v121, v153, v127
	v_dual_add_f32 v117, v120, v117 :: v_dual_sub_f32 v120, v122, v152
	v_mul_f32_e32 v122, 0xbe11bafb, v129
	s_delay_alu instid0(VALU_DEP_3) | instskip(SKIP_1) | instid1(VALU_DEP_4)
	v_dual_add_f32 v127, v147, v165 :: v_dual_add_f32 v118, v121, v118
	v_sub_f32_e32 v121, v164, v142
	v_dual_add_f32 v117, v120, v117 :: v_dual_sub_f32 v120, v126, v150
	v_dual_add_f32 v129, v135, v171 :: v_dual_add_f32 v116, v116, v161
	v_dual_sub_f32 v112, v160, v112 :: v_dual_add_f32 v113, v113, v185
	s_delay_alu instid0(VALU_DEP_3) | instskip(SKIP_3) | instid1(VALU_DEP_4)
	v_dual_add_f32 v117, v120, v117 :: v_dual_sub_f32 v120, v122, v148
	v_add_f32_e32 v126, v45, v127
	v_add_f32_e32 v127, v145, v173
	v_sub_f32_e32 v122, v172, v141
	v_dual_add_f32 v116, v45, v116 :: v_dual_add_f32 v117, v120, v117
	v_dual_add_f32 v120, v137, v163 :: v_dual_add_f32 v121, v44, v121
	v_dual_add_f32 v114, v114, v177 :: v_dual_sub_f32 v111, v168, v111
	v_dual_add_f32 v112, v44, v112 :: v_dual_add_f32 v99, v45, v99
	s_delay_alu instid0(VALU_DEP_3) | instskip(SKIP_2) | instid1(VALU_DEP_4)
	v_dual_add_f32 v121, v122, v121 :: v_dual_sub_f32 v122, v180, v138
	v_dual_add_f32 v126, v127, v126 :: v_dual_add_f32 v127, v146, v181
	v_add_f32_e32 v120, v45, v120
	v_dual_add_f32 v111, v111, v112 :: v_dual_sub_f32 v110, v176, v110
	v_add_f32_e32 v107, v107, v159
	s_delay_alu instid0(VALU_DEP_4) | instskip(NEXT) | instid1(VALU_DEP_4)
	v_add_f32_e32 v126, v127, v126
	v_dual_add_f32 v127, v143, v189 :: v_dual_add_f32 v120, v129, v120
	v_add_f32_e32 v129, v136, v179
	v_add_f32_e32 v102, v44, v102
	v_dual_add_f32 v110, v110, v111 :: v_dual_add_f32 v99, v99, v98
	s_delay_alu instid0(VALU_DEP_4)
	v_dual_add_f32 v126, v127, v126 :: v_dual_add_f32 v127, v144, v131
	v_sub_f32_e32 v131, v151, v140
	v_dual_add_f32 v121, v122, v121 :: v_dual_sub_f32 v122, v188, v139
	v_add_f32_e32 v101, v102, v101
	v_sub_f32_e32 v109, v184, v109
	v_add_f32_e32 v97, v99, v97
	s_delay_alu instid0(VALU_DEP_4) | instskip(SKIP_2) | instid1(VALU_DEP_3)
	v_dual_add_f32 v45, v45, v107 :: v_dual_add_f32 v122, v122, v121
	v_dual_add_f32 v121, v127, v126 :: v_dual_sub_f32 v126, v162, v132
	v_add_f32_e32 v127, v129, v120
	v_dual_add_f32 v129, v134, v187 :: v_dual_add_f32 v120, v131, v122
	s_delay_alu instid0(VALU_DEP_3) | instskip(NEXT) | instid1(VALU_DEP_2)
	v_dual_add_f32 v99, v101, v100 :: v_dual_add_f32 v122, v44, v126
	v_dual_sub_f32 v126, v170, v128 :: v_dual_add_f32 v127, v129, v127
	v_dual_add_f32 v128, v115, v169 :: v_dual_add_f32 v123, v133, v123
	s_delay_alu instid0(VALU_DEP_3) | instskip(NEXT) | instid1(VALU_DEP_3)
	v_add_f32_e32 v58, v99, v58
	v_add_f32_e32 v122, v126, v122
	v_sub_f32_e32 v126, v178, v130
	s_delay_alu instid0(VALU_DEP_4) | instskip(SKIP_2) | instid1(VALU_DEP_4)
	v_dual_add_f32 v116, v128, v116 :: v_dual_add_f32 v115, v123, v127
	v_sub_f32_e32 v123, v186, v124
	v_dual_add_f32 v96, v97, v96 :: v_dual_add_f32 v57, v58, v57
	v_add_f32_e32 v122, v126, v122
	s_delay_alu instid0(VALU_DEP_4) | instskip(SKIP_1) | instid1(VALU_DEP_3)
	v_add_f32_e32 v114, v114, v116
	v_dual_add_f32 v102, v109, v110 :: v_dual_add_f32 v97, v106, v167
	v_dual_sub_f32 v101, v158, v105 :: v_dual_add_f32 v116, v123, v122
	s_delay_alu instid0(VALU_DEP_3) | instskip(SKIP_3) | instid1(VALU_DEP_3)
	v_add_f32_e32 v112, v113, v114
	v_dual_sub_f32 v122, v192, v125 :: v_dual_add_f32 v113, v119, v191
	v_add_f32_e32 v95, v96, v95
	v_dual_sub_f32 v100, v156, v108 :: v_dual_sub_f32 v99, v166, v103
	v_add_f32_e32 v114, v122, v116
	s_delay_alu instid0(VALU_DEP_4)
	v_add_f32_e32 v98, v113, v112
	v_add_f32_e32 v44, v44, v101
	v_dual_add_f32 v45, v97, v45 :: v_dual_add_f32 v58, v104, v175
	v_dual_add_f32 v94, v95, v94 :: v_dual_sub_f32 v55, v182, v55
	v_add_f32_e32 v56, v57, v56
	v_sub_f32_e32 v57, v174, v60
	s_delay_alu instid0(VALU_DEP_4) | instskip(SKIP_3) | instid1(VALU_DEP_3)
	v_dual_add_f32 v44, v99, v44 :: v_dual_add_f32 v45, v58, v45
	v_add_f32_e32 v58, v61, v183
	v_dual_add_f32 v60, v94, v93 :: v_dual_sub_f32 v51, v157, v51
	v_add_f32_e32 v97, v100, v102
	v_dual_add_f32 v45, v58, v45 :: v_dual_add_f32 v54, v56, v54
	s_delay_alu instid0(VALU_DEP_3) | instskip(SKIP_1) | instid1(VALU_DEP_1)
	v_add_f32_e32 v56, v60, v92
	v_add_f32_e32 v44, v57, v44
	v_dual_add_f32 v44, v55, v44 :: v_dual_add_f32 v55, v56, v90
	s_delay_alu instid0(VALU_DEP_1) | instskip(NEXT) | instid1(VALU_DEP_2)
	v_add_f32_e32 v44, v51, v44
	v_add_f32_e32 v51, v55, v91
	v_dual_add_f32 v53, v54, v53 :: v_dual_add_f32 v54, v59, v190
	s_delay_alu instid0(VALU_DEP_1) | instskip(SKIP_1) | instid1(VALU_DEP_3)
	v_dual_add_f32 v50, v53, v50 :: v_dual_add_nc_u32 v55, 0x2400, v83
	v_add_nc_u32_e32 v53, 0x1000, v83
	v_dual_add_f32 v45, v54, v45 :: v_dual_add_nc_u32 v54, 0x1a00, v83
	s_delay_alu instid0(VALU_DEP_3)
	v_add_f32_e32 v50, v50, v52
	v_add_nc_u32_e32 v52, 0x800, v83
	ds_store_2addr_b64 v83, v[50:51], v[44:45] offset1:147
	ds_store_2addr_b64 v52, v[97:98], v[114:115] offset0:38 offset1:185
	ds_store_2addr_b64 v53, v[120:121], v[117:118] offset0:76 offset1:223
	;; [unrolled: 1-line block ×4, first 2 shown]
	ds_store_b64 v83, v[62:63] offset:11760
.LBB0_11:
	s_wait_alu 0xfffe
	s_or_b32 exec_lo, exec_lo, s1
	s_add_nc_u64 s[2:3], s[16:17], 0x3288
	global_wb scope:SCOPE_SE
	s_wait_dscnt 0x0
	s_barrier_signal -1
	s_barrier_wait -1
	global_inv scope:SCOPE_SE
	s_clause 0x5
	global_load_b64 v[44:45], v[65:66], off offset:12936
	global_load_b64 v[58:59], v83, s[2:3] offset:6160
	global_load_b64 v[54:55], v83, s[2:3] offset:1848
	global_load_b64 v[60:61], v83, s[2:3] offset:4312
	global_load_b64 v[90:91], v83, s[2:3] offset:8624
	global_load_b64 v[92:93], v83, s[2:3] offset:10472
	ds_load_2addr_b64 v[50:53], v83 offset1:231
	s_wait_loadcnt_dscnt 0x500
	v_mul_f32_e32 v57, v51, v45
	s_wait_loadcnt 0x3
	v_dual_mul_f32 v56, v50, v45 :: v_dual_mul_f32 v95, v52, v55
	v_mul_f32_e32 v94, v53, v55
	v_add_nc_u32_e32 v45, 0x1080, v83
	v_fma_f32 v55, v50, v44, -v57
	s_delay_alu instid0(VALU_DEP_4)
	v_fmac_f32_e32 v56, v51, v44
	v_dual_fmac_f32 v95, v53, v54 :: v_dual_add_nc_u32 v44, 0x2100, v83
	v_fma_f32 v94, v52, v54, -v94
	ds_store_b64 v83, v[55:56]
	ds_load_2addr_b64 v[50:53], v45 offset0:11 offset1:242
	ds_load_2addr_b64 v[54:57], v44 offset0:22 offset1:253
	s_wait_loadcnt_dscnt 0x201
	v_mul_f32_e32 v96, v51, v61
	s_wait_loadcnt_dscnt 0x100
	v_dual_mul_f32 v97, v50, v61 :: v_dual_mul_f32 v98, v55, v91
	v_mul_f32_e32 v61, v54, v91
	v_mul_f32_e32 v99, v53, v59
	s_wait_loadcnt 0x0
	v_dual_mul_f32 v91, v52, v59 :: v_dual_mul_f32 v100, v57, v93
	v_mul_f32_e32 v59, v56, v93
	v_fma_f32 v96, v50, v60, -v96
	v_fmac_f32_e32 v97, v51, v60
	v_fma_f32 v60, v54, v90, -v98
	v_fmac_f32_e32 v61, v55, v90
	;; [unrolled: 2-line block ×4, first 2 shown]
	ds_store_b64 v83, v[94:95] offset:1848
	ds_store_2addr_b64 v45, v[96:97], v[90:91] offset0:11 offset1:242
	ds_store_2addr_b64 v44, v[60:61], v[58:59] offset0:22 offset1:253
	s_and_saveexec_b32 s1, vcc_lo
	s_cbranch_execz .LBB0_13
; %bb.12:
	s_wait_alu 0xfffe
	v_add_co_u32 v50, s2, s2, v83
	s_wait_alu 0xf1ff
	v_add_co_ci_u32_e64 v51, null, s3, 0, s2
	s_clause 0x2
	global_load_b64 v[52:53], v[50:51], off offset:3696
	global_load_b64 v[54:55], v[50:51], off offset:8008
	;; [unrolled: 1-line block ×3, first 2 shown]
	ds_load_b64 v[56:57], v83 offset:3696
	ds_load_b64 v[58:59], v83 offset:8008
	;; [unrolled: 1-line block ×3, first 2 shown]
	s_wait_loadcnt_dscnt 0x202
	v_mul_f32_e32 v90, v57, v53
	s_wait_loadcnt_dscnt 0x101
	v_dual_mul_f32 v91, v56, v53 :: v_dual_mul_f32 v92, v59, v55
	v_mul_f32_e32 v53, v58, v55
	s_wait_loadcnt_dscnt 0x0
	v_mul_f32_e32 v93, v61, v51
	v_mul_f32_e32 v55, v60, v51
	v_fma_f32 v90, v56, v52, -v90
	v_fmac_f32_e32 v91, v57, v52
	v_fma_f32 v52, v58, v54, -v92
	v_fmac_f32_e32 v53, v59, v54
	;; [unrolled: 2-line block ×3, first 2 shown]
	ds_store_b64 v83, v[90:91] offset:3696
	ds_store_b64 v83, v[52:53] offset:8008
	;; [unrolled: 1-line block ×3, first 2 shown]
.LBB0_13:
	s_wait_alu 0xfffe
	s_or_b32 exec_lo, exec_lo, s1
	global_wb scope:SCOPE_SE
	s_wait_dscnt 0x0
	s_barrier_signal -1
	s_barrier_wait -1
	global_inv scope:SCOPE_SE
	ds_load_2addr_b64 v[50:53], v83 offset1:231
	ds_load_2addr_b64 v[54:57], v45 offset0:11 offset1:242
	ds_load_2addr_b64 v[58:61], v44 offset0:22 offset1:253
	s_and_saveexec_b32 s1, vcc_lo
	s_cbranch_execz .LBB0_15
; %bb.14:
	ds_load_b64 v[79:80], v83 offset:3696
	ds_load_b64 v[81:82], v83 offset:8008
	;; [unrolled: 1-line block ×3, first 2 shown]
.LBB0_15:
	s_wait_alu 0xfffe
	s_or_b32 exec_lo, exec_lo, s1
	s_wait_dscnt 0x0
	v_dual_add_f32 v44, v54, v58 :: v_dual_sub_f32 v93, v55, v59
	v_add_f32_e32 v45, v50, v54
	v_add_f32_e32 v91, v55, v59
	global_wb scope:SCOPE_SE
	v_fma_f32 v90, -0.5, v44, v50
	v_add_f32_e32 v50, v56, v60
	v_add_f32_e32 v44, v51, v55
	;; [unrolled: 1-line block ×3, first 2 shown]
	v_fma_f32 v91, -0.5, v91, v51
	v_dual_fmamk_f32 v94, v93, 0xbf5db3d7, v90 :: v_dual_sub_f32 v45, v54, v58
	s_delay_alu instid0(VALU_DEP_4) | instskip(SKIP_2) | instid1(VALU_DEP_4)
	v_dual_fmac_f32 v90, 0x3f5db3d7, v93 :: v_dual_add_f32 v93, v44, v59
	v_add_f32_e32 v44, v52, v56
	v_fma_f32 v52, -0.5, v50, v52
	v_fmamk_f32 v95, v45, 0x3f5db3d7, v91
	v_fmac_f32_e32 v91, 0xbf5db3d7, v45
	s_delay_alu instid0(VALU_DEP_4) | instskip(SKIP_2) | instid1(VALU_DEP_3)
	v_dual_add_f32 v45, v57, v61 :: v_dual_add_f32 v54, v44, v60
	v_sub_f32_e32 v56, v56, v60
	v_add_f32_e32 v44, v53, v57
	v_dual_sub_f32 v60, v81, v48 :: v_dual_fmac_f32 v53, -0.5, v45
	v_sub_f32_e32 v50, v57, v61
	v_add_f32_e32 v51, v82, v49
	v_sub_f32_e32 v57, v82, v49
	s_barrier_signal -1
	v_fmamk_f32 v59, v56, 0x3f5db3d7, v53
	v_dual_fmac_f32 v53, 0xbf5db3d7, v56 :: v_dual_fmamk_f32 v58, v50, 0xbf5db3d7, v52
	v_dual_add_f32 v55, v44, v61 :: v_dual_fmac_f32 v52, 0x3f5db3d7, v50
	v_add_f32_e32 v50, v81, v48
	v_fma_f32 v45, -0.5, v51, v80
	s_barrier_wait -1
	global_inv scope:SCOPE_SE
	ds_store_2addr_b64 v87, v[92:93], v[94:95] offset1:1
	ds_store_b64 v87, v[90:91] offset:16
	ds_store_2addr_b64 v86, v[54:55], v[58:59] offset1:1
	ds_store_b64 v86, v[52:53] offset:16
	v_fma_f32 v44, -0.5, v50, v79
	v_fmamk_f32 v51, v60, 0x3f5db3d7, v45
	s_delay_alu instid0(VALU_DEP_2)
	v_dual_fmac_f32 v45, 0xbf5db3d7, v60 :: v_dual_fmamk_f32 v50, v57, 0xbf5db3d7, v44
	v_fmac_f32_e32 v44, 0x3f5db3d7, v57
	s_and_saveexec_b32 s1, vcc_lo
	s_cbranch_execz .LBB0_17
; %bb.16:
	v_dual_add_f32 v52, v80, v82 :: v_dual_add_f32 v53, v79, v81
	v_lshlrev_b32_e32 v54, 3, v85
	s_delay_alu instid0(VALU_DEP_2)
	v_dual_add_f32 v49, v52, v49 :: v_dual_add_f32 v48, v53, v48
	ds_store_2addr_b64 v54, v[48:49], v[50:51] offset1:1
	ds_store_b64 v54, v[44:45] offset:16
.LBB0_17:
	s_wait_alu 0xfffe
	s_or_b32 exec_lo, exec_lo, s1
	global_wb scope:SCOPE_SE
	s_wait_dscnt 0x0
	s_barrier_signal -1
	s_barrier_wait -1
	global_inv scope:SCOPE_SE
	ds_load_2addr_b64 v[52:55], v83 offset1:231
	ds_load_b64 v[48:49], v83 offset:11088
	v_add_nc_u32_e32 v60, 0xe00, v83
	s_wait_dscnt 0x0
	v_dual_mul_f32 v86, v3, v49 :: v_dual_add_nc_u32 v61, 0x1c80, v83
	v_mul_f32_e32 v85, v9, v55
	v_mul_f32_e32 v9, v9, v54
	ds_load_2addr_b64 v[56:59], v60 offset0:14 offset1:245
	ds_load_2addr_b64 v[79:82], v61 offset0:12 offset1:243
	v_mul_f32_e32 v3, v3, v48
	v_fmac_f32_e32 v86, v2, v48
	global_wb scope:SCOPE_SE
	s_wait_dscnt 0x0
	s_barrier_signal -1
	s_barrier_wait -1
	global_inv scope:SCOPE_SE
	v_mul_f32_e32 v87, v1, v82
	s_delay_alu instid0(VALU_DEP_1)
	v_fmac_f32_e32 v87, v0, v81
	v_fmac_f32_e32 v85, v8, v54
	v_fma_f32 v8, v8, v55, -v9
	v_mul_f32_e32 v54, v5, v59
	v_fma_f32 v2, v2, v49, -v3
	v_mul_f32_e32 v55, v7, v80
	v_mul_f32_e32 v9, v11, v57
	s_delay_alu instid0(VALU_DEP_4) | instskip(NEXT) | instid1(VALU_DEP_3)
	v_dual_mul_f32 v11, v11, v56 :: v_dual_fmac_f32 v54, v4, v58
	v_fmac_f32_e32 v55, v6, v79
	v_mul_f32_e32 v1, v1, v81
	s_delay_alu instid0(VALU_DEP_2) | instskip(NEXT) | instid1(VALU_DEP_2)
	v_dual_fmac_f32 v9, v10, v56 :: v_dual_sub_f32 v48, v55, v54
	v_fma_f32 v0, v0, v82, -v1
	v_mul_f32_e32 v5, v5, v58
	s_delay_alu instid0(VALU_DEP_1) | instskip(SKIP_1) | instid1(VALU_DEP_1)
	v_fma_f32 v4, v4, v59, -v5
	v_mul_f32_e32 v7, v7, v79
	v_fma_f32 v5, v6, v80, -v7
	v_add_f32_e32 v6, v8, v2
	v_fma_f32 v3, v10, v57, -v11
	v_sub_f32_e32 v2, v8, v2
	s_delay_alu instid0(VALU_DEP_4) | instskip(SKIP_1) | instid1(VALU_DEP_4)
	v_dual_add_f32 v8, v9, v87 :: v_dual_add_f32 v11, v4, v5
	v_sub_f32_e32 v4, v5, v4
	v_add_f32_e32 v10, v3, v0
	v_dual_sub_f32 v0, v3, v0 :: v_dual_add_f32 v3, v54, v55
	s_delay_alu instid0(VALU_DEP_2) | instskip(NEXT) | instid1(VALU_DEP_2)
	v_add_f32_e32 v49, v10, v6
	v_add_f32_e32 v57, v4, v0
	v_sub_f32_e32 v59, v4, v0
	v_dual_sub_f32 v4, v2, v4 :: v_dual_add_f32 v1, v85, v86
	v_sub_f32_e32 v55, v10, v6
	v_sub_f32_e32 v6, v6, v11
	s_delay_alu instid0(VALU_DEP_3)
	v_dual_sub_f32 v10, v11, v10 :: v_dual_add_f32 v5, v8, v1
	v_sub_f32_e32 v54, v8, v1
	v_sub_f32_e32 v56, v1, v3
	;; [unrolled: 1-line block ×4, first 2 shown]
	v_mul_f32_e32 v6, 0x3f4a47b2, v6
	s_delay_alu instid0(VALU_DEP_3) | instskip(NEXT) | instid1(VALU_DEP_3)
	v_sub_f32_e32 v58, v48, v9
	v_dual_add_f32 v1, v48, v9 :: v_dual_sub_f32 v48, v7, v48
	v_sub_f32_e32 v8, v3, v8
	v_add_f32_e32 v3, v3, v5
	v_add_f32_e32 v5, v11, v49
	v_mul_f32_e32 v49, 0x3f4a47b2, v56
	v_sub_f32_e32 v9, v9, v7
	v_dual_add_f32 v7, v1, v7 :: v_dual_mul_f32 v56, 0x3f08b237, v58
	s_delay_alu instid0(VALU_DEP_4)
	v_add_f32_e32 v1, v53, v5
	v_dual_mul_f32 v53, 0x3d64c772, v10 :: v_dual_fmamk_f32 v10, v10, 0x3d64c772, v6
	v_sub_f32_e32 v11, v0, v2
	v_add_f32_e32 v0, v52, v3
	v_mul_f32_e32 v52, 0x3d64c772, v8
	v_fmamk_f32 v8, v8, 0x3d64c772, v49
	v_mul_f32_e32 v58, 0xbf5ff5aa, v9
	v_fma_f32 v49, 0xbf3bfb3b, v54, -v49
	v_fmamk_f32 v3, v3, 0xbf955555, v0
	v_fma_f32 v52, 0x3f3bfb3b, v54, -v52
	v_fmamk_f32 v54, v48, 0xbeae86e6, v56
	v_fmamk_f32 v5, v5, 0xbf955555, v1
	v_add_f32_e32 v2, v57, v2
	v_fma_f32 v48, 0x3eae86e6, v48, -v58
	v_add_f32_e32 v49, v49, v3
	s_delay_alu instid0(VALU_DEP_4) | instskip(SKIP_4) | instid1(VALU_DEP_4)
	v_dual_mul_f32 v57, 0x3f08b237, v59 :: v_dual_add_f32 v58, v10, v5
	v_mul_f32_e32 v59, 0xbf5ff5aa, v11
	v_fma_f32 v9, 0xbf5ff5aa, v9, -v56
	v_fma_f32 v53, 0x3f3bfb3b, v55, -v53
	;; [unrolled: 1-line block ×4, first 2 shown]
	s_delay_alu instid0(VALU_DEP_3) | instskip(NEXT) | instid1(VALU_DEP_2)
	v_add_f32_e32 v10, v53, v5
	v_fmac_f32_e32 v56, 0xbee1c552, v2
	v_fmamk_f32 v55, v4, 0xbeae86e6, v57
	s_delay_alu instid0(VALU_DEP_2)
	v_add_f32_e32 v4, v56, v49
	v_fma_f32 v11, 0xbf5ff5aa, v11, -v57
	v_add_f32_e32 v57, v8, v3
	v_add_f32_e32 v8, v52, v3
	v_dual_add_f32 v52, v6, v5 :: v_dual_fmac_f32 v9, 0xbee1c552, v7
	v_fmac_f32_e32 v54, 0xbee1c552, v7
	v_dual_fmac_f32 v48, 0xbee1c552, v7 :: v_dual_fmac_f32 v11, 0xbee1c552, v2
	s_delay_alu instid0(VALU_DEP_3)
	v_add_f32_e32 v7, v9, v10
	v_dual_sub_f32 v9, v10, v9 :: v_dual_sub_f32 v10, v49, v56
	v_fmac_f32_e32 v55, 0xbee1c552, v2
	v_sub_f32_e32 v3, v58, v54
	v_sub_f32_e32 v5, v52, v48
	;; [unrolled: 1-line block ×3, first 2 shown]
	v_add_f32_e32 v8, v11, v8
	v_dual_add_f32 v2, v55, v57 :: v_dual_add_f32 v11, v48, v52
	v_dual_sub_f32 v48, v57, v55 :: v_dual_add_f32 v49, v54, v58
	ds_store_2addr_b64 v88, v[0:1], v[2:3] offset1:3
	ds_store_2addr_b64 v88, v[4:5], v[6:7] offset0:6 offset1:9
	ds_store_2addr_b64 v88, v[8:9], v[10:11] offset0:12 offset1:15
	ds_store_b64 v88, v[48:49] offset:144
	global_wb scope:SCOPE_SE
	s_wait_dscnt 0x0
	s_barrier_signal -1
	s_barrier_wait -1
	global_inv scope:SCOPE_SE
	ds_load_2addr_b64 v[0:3], v83 offset1:231
	ds_load_2addr_b64 v[4:7], v60 offset0:14 offset1:245
	ds_load_2addr_b64 v[8:11], v61 offset0:12 offset1:243
	ds_load_b64 v[48:49], v83 offset:11088
	global_wb scope:SCOPE_SE
	s_wait_dscnt 0x0
	s_barrier_signal -1
	s_barrier_wait -1
	global_inv scope:SCOPE_SE
	v_mul_f32_e32 v52, v21, v3
	v_mul_f32_e32 v21, v21, v2
	s_delay_alu instid0(VALU_DEP_2) | instskip(NEXT) | instid1(VALU_DEP_2)
	v_fmac_f32_e32 v52, v20, v2
	v_fma_f32 v2, v20, v3, -v21
	v_dual_mul_f32 v21, v17, v7 :: v_dual_mul_f32 v20, v23, v4
	s_delay_alu instid0(VALU_DEP_1) | instskip(SKIP_1) | instid1(VALU_DEP_1)
	v_fmac_f32_e32 v21, v16, v6
	v_dual_mul_f32 v17, v17, v6 :: v_dual_mul_f32 v6, v15, v49
	v_dual_fmac_f32 v6, v14, v48 :: v_dual_mul_f32 v3, v23, v5
	v_mul_f32_e32 v23, v19, v9
	s_delay_alu instid0(VALU_DEP_2)
	v_fmac_f32_e32 v3, v22, v4
	v_fma_f32 v4, v22, v5, -v20
	v_fma_f32 v5, v16, v7, -v17
	v_mul_f32_e32 v7, v15, v48
	v_mul_f32_e32 v15, v13, v11
	;; [unrolled: 1-line block ×3, first 2 shown]
	s_delay_alu instid0(VALU_DEP_3) | instskip(NEXT) | instid1(VALU_DEP_3)
	v_fma_f32 v7, v14, v49, -v7
	v_fmac_f32_e32 v15, v12, v10
	v_dual_add_f32 v10, v52, v6 :: v_dual_fmac_f32 v23, v18, v8
	v_mul_f32_e32 v8, v19, v8
	v_sub_f32_e32 v6, v52, v6
	s_delay_alu instid0(VALU_DEP_2) | instskip(SKIP_1) | instid1(VALU_DEP_1)
	v_fma_f32 v8, v18, v9, -v8
	v_fma_f32 v9, v12, v11, -v13
	v_dual_add_f32 v13, v5, v8 :: v_dual_add_f32 v12, v4, v9
	v_dual_sub_f32 v4, v4, v9 :: v_dual_add_f32 v11, v2, v7
	v_sub_f32_e32 v2, v2, v7
	v_add_f32_e32 v7, v3, v15
	s_delay_alu instid0(VALU_DEP_1) | instskip(NEXT) | instid1(VALU_DEP_1)
	v_dual_sub_f32 v5, v8, v5 :: v_dual_add_f32 v8, v7, v10
	v_dual_sub_f32 v16, v7, v10 :: v_dual_add_f32 v19, v5, v4
	v_add_f32_e32 v9, v21, v23
	s_delay_alu instid0(VALU_DEP_1)
	v_sub_f32_e32 v10, v10, v9
	v_dual_sub_f32 v14, v23, v21 :: v_dual_sub_f32 v21, v5, v4
	v_dual_sub_f32 v5, v2, v5 :: v_dual_sub_f32 v4, v4, v2
	v_add_f32_e32 v2, v19, v2
	v_dual_add_f32 v8, v9, v8 :: v_dual_sub_f32 v3, v3, v15
	v_mul_f32_e32 v10, 0x3f4a47b2, v10
	s_delay_alu instid0(VALU_DEP_2) | instskip(NEXT) | instid1(VALU_DEP_3)
	v_add_f32_e32 v0, v0, v8
	v_add_f32_e32 v18, v14, v3
	v_sub_f32_e32 v20, v14, v3
	v_sub_f32_e32 v14, v6, v14
	s_delay_alu instid0(VALU_DEP_4) | instskip(NEXT) | instid1(VALU_DEP_4)
	v_dual_sub_f32 v3, v3, v6 :: v_dual_fmamk_f32 v8, v8, 0xbf955555, v0
	v_dual_add_f32 v6, v18, v6 :: v_dual_sub_f32 v7, v9, v7
	s_delay_alu instid0(VALU_DEP_4) | instskip(SKIP_1) | instid1(VALU_DEP_4)
	v_dual_mul_f32 v18, 0x3f08b237, v20 :: v_dual_add_f32 v15, v12, v11
	v_sub_f32_e32 v17, v12, v11
	v_dual_sub_f32 v11, v11, v13 :: v_dual_mul_f32 v20, 0xbf5ff5aa, v3
	v_sub_f32_e32 v12, v13, v12
	s_delay_alu instid0(VALU_DEP_4) | instskip(SKIP_1) | instid1(VALU_DEP_4)
	v_add_f32_e32 v9, v13, v15
	v_mul_f32_e32 v13, 0x3d64c772, v7
	v_mul_f32_e32 v11, 0x3f4a47b2, v11
	v_fmamk_f32 v7, v7, 0x3d64c772, v10
	v_fma_f32 v10, 0xbf3bfb3b, v16, -v10
	v_mul_f32_e32 v15, 0x3d64c772, v12
	v_fma_f32 v13, 0x3f3bfb3b, v16, -v13
	v_fmamk_f32 v16, v14, 0xbeae86e6, v18
	v_fma_f32 v14, 0x3eae86e6, v14, -v20
	v_dual_add_f32 v1, v1, v9 :: v_dual_fmamk_f32 v12, v12, 0x3d64c772, v11
	v_add_f32_e32 v20, v7, v8
	v_fma_f32 v15, 0x3f3bfb3b, v17, -v15
	s_delay_alu instid0(VALU_DEP_4) | instskip(NEXT) | instid1(VALU_DEP_4)
	v_fmac_f32_e32 v14, 0xbee1c552, v6
	v_fmamk_f32 v9, v9, 0xbf955555, v1
	v_fma_f32 v11, 0xbf3bfb3b, v17, -v11
	v_fmac_f32_e32 v16, 0xbee1c552, v6
	s_delay_alu instid0(VALU_DEP_3) | instskip(SKIP_2) | instid1(VALU_DEP_3)
	v_add_f32_e32 v12, v12, v9
	v_mul_f32_e32 v19, 0x3f08b237, v21
	v_mul_f32_e32 v21, 0xbf5ff5aa, v4
	v_add_f32_e32 v49, v16, v12
	s_delay_alu instid0(VALU_DEP_3) | instskip(SKIP_1) | instid1(VALU_DEP_4)
	v_fmamk_f32 v17, v5, 0xbeae86e6, v19
	v_fma_f32 v4, 0xbf5ff5aa, v4, -v19
	v_fma_f32 v19, 0x3eae86e6, v5, -v21
	v_add_f32_e32 v5, v13, v8
	v_add_f32_e32 v13, v10, v8
	v_fmac_f32_e32 v17, 0xbee1c552, v2
	v_fmac_f32_e32 v4, 0xbee1c552, v2
	s_delay_alu instid0(VALU_DEP_2) | instskip(SKIP_4) | instid1(VALU_DEP_4)
	v_dual_fmac_f32 v19, 0xbee1c552, v2 :: v_dual_add_f32 v2, v17, v20
	v_fma_f32 v18, 0xbf5ff5aa, v3, -v18
	v_sub_f32_e32 v48, v20, v17
	v_add_f32_e32 v7, v15, v9
	v_add_f32_e32 v15, v11, v9
	v_dual_sub_f32 v3, v12, v16 :: v_dual_fmac_f32 v18, 0xbee1c552, v6
	v_add_f32_e32 v8, v19, v13
	s_delay_alu instid0(VALU_DEP_3) | instskip(NEXT) | instid1(VALU_DEP_3)
	v_dual_sub_f32 v10, v5, v4 :: v_dual_sub_f32 v9, v15, v14
	v_dual_add_f32 v4, v4, v5 :: v_dual_add_f32 v11, v18, v7
	v_dual_sub_f32 v5, v7, v18 :: v_dual_sub_f32 v6, v13, v19
	v_add_f32_e32 v7, v14, v15
	ds_store_2addr_b64 v89, v[0:1], v[2:3] offset1:21
	ds_store_2addr_b64 v89, v[8:9], v[10:11] offset0:42 offset1:63
	ds_store_2addr_b64 v89, v[4:5], v[6:7] offset0:84 offset1:105
	ds_store_b64 v89, v[48:49] offset:1008
	global_wb scope:SCOPE_SE
	s_wait_dscnt 0x0
	s_barrier_signal -1
	s_barrier_wait -1
	global_inv scope:SCOPE_SE
	s_and_saveexec_b32 s1, s0
	s_cbranch_execz .LBB0_19
; %bb.18:
	v_add_nc_u32_e32 v4, 0x800, v83
	v_add_nc_u32_e32 v5, 0x1000, v83
	;; [unrolled: 1-line block ×4, first 2 shown]
	ds_load_2addr_b64 v[0:3], v83 offset1:147
	ds_load_2addr_b64 v[8:11], v4 offset0:38 offset1:185
	ds_load_2addr_b64 v[4:7], v5 offset0:76 offset1:223
	;; [unrolled: 1-line block ×4, first 2 shown]
	ds_load_b64 v[62:63], v83 offset:11760
.LBB0_19:
	s_wait_alu 0xfffe
	s_or_b32 exec_lo, exec_lo, s1
	s_and_saveexec_b32 s1, s0
	s_cbranch_execz .LBB0_21
; %bb.20:
	s_wait_dscnt 0x5
	v_mul_f32_e32 v14, v37, v3
	s_wait_dscnt 0x0
	v_mul_f32_e32 v15, v43, v63
	v_mul_f32_e32 v12, v43, v62
	v_dual_mul_f32 v20, v41, v47 :: v_dual_mul_f32 v19, v39, v9
	v_fmac_f32_e32 v14, v36, v2
	s_delay_alu instid0(VALU_DEP_4) | instskip(SKIP_3) | instid1(VALU_DEP_4)
	v_fmac_f32_e32 v15, v42, v62
	v_mul_f32_e32 v13, v37, v2
	v_fma_f32 v16, v42, v63, -v12
	v_dual_fmac_f32 v20, v40, v46 :: v_dual_fmac_f32 v19, v38, v8
	v_sub_f32_e32 v22, v14, v15
	s_delay_alu instid0(VALU_DEP_4) | instskip(SKIP_3) | instid1(VALU_DEP_4)
	v_fma_f32 v12, v36, v3, -v13
	v_mul_f32_e32 v3, v41, v46
	v_mul_f32_e32 v13, v39, v8
	v_sub_f32_e32 v2, v19, v20
	v_dual_mul_f32 v36, v33, v10 :: v_dual_add_f32 v17, v16, v12
	s_delay_alu instid0(VALU_DEP_4) | instskip(NEXT) | instid1(VALU_DEP_4)
	v_fma_f32 v18, v40, v47, -v3
	v_fma_f32 v13, v38, v9, -v13
	v_mul_f32_e32 v8, v31, v44
	v_mul_f32_e32 v31, v31, v45
	v_fma_f32 v36, v32, v11, -v36
	v_mul_f32_e32 v11, v33, v11
	v_add_f32_e32 v9, v18, v13
	v_fma_f32 v38, v30, v45, -v8
	v_dual_mul_f32 v8, v29, v50 :: v_dual_fmac_f32 v31, v30, v44
	v_mul_f32_e32 v21, 0xbf75a155, v17
	s_delay_alu instid0(VALU_DEP_4) | instskip(SKIP_1) | instid1(VALU_DEP_4)
	v_mul_f32_e32 v23, 0x3f575c64, v9
	v_sub_f32_e32 v47, v13, v18
	v_fma_f32 v30, v28, v51, -v8
	v_mul_f32_e32 v8, v25, v6
	v_fmac_f32_e32 v11, v32, v10
	v_dual_add_f32 v39, v38, v36 :: v_dual_add_f32 v44, v15, v14
	v_mul_f32_e32 v29, v29, v51
	s_delay_alu instid0(VALU_DEP_4) | instskip(SKIP_2) | instid1(VALU_DEP_4)
	v_fma_f32 v43, v24, v7, -v8
	v_mul_f32_e32 v33, v35, v4
	v_dual_mul_f32 v55, 0xbe11bafb, v9 :: v_dual_sub_f32 v42, v12, v16
	v_fmac_f32_e32 v29, v28, v50
	v_mul_f32_e32 v107, 0x3ed4b147, v9
	s_delay_alu instid0(VALU_DEP_4) | instskip(SKIP_3) | instid1(VALU_DEP_4)
	v_fma_f32 v32, v34, v5, -v33
	v_mul_f32_e32 v25, v25, v7
	v_mul_f32_e32 v33, v35, v5
	;; [unrolled: 1-line block ×3, first 2 shown]
	v_dual_mul_f32 v27, v27, v49 :: v_dual_sub_f32 v54, v32, v30
	s_delay_alu instid0(VALU_DEP_4)
	v_fmac_f32_e32 v25, v24, v6
	v_dual_add_f32 v24, v20, v19 :: v_dual_fmamk_f32 v3, v22, 0x3e903f40, v21
	v_sub_f32_e32 v40, v11, v31
	v_mul_f32_e32 v35, 0xbf27a4f4, v39
	v_fmac_f32_e32 v33, v34, v4
	v_fmamk_f32 v37, v2, 0xbf0a6770, v23
	v_add_f32_e32 v3, v1, v3
	v_fmac_f32_e32 v27, v26, v48
	v_dual_add_f32 v41, v30, v32 :: v_dual_fmamk_f32 v4, v40, 0x3f4178ce, v35
	v_sub_f32_e32 v34, v33, v29
	v_fmamk_f32 v108, v2, 0x3f68dda4, v107
	s_delay_alu instid0(VALU_DEP_4)
	v_sub_f32_e32 v50, v25, v27
	v_add_f32_e32 v3, v37, v3
	v_fma_f32 v37, v26, v49, -v5
	v_mul_f32_e32 v45, 0xbe903f40, v42
	v_mul_f32_e32 v89, 0x3f575c64, v41
	;; [unrolled: 1-line block ×4, first 2 shown]
	v_dual_add_f32 v46, v37, v43 :: v_dual_sub_f32 v49, v36, v38
	v_sub_f32_e32 v58, v43, v37
	v_add_f32_e32 v60, v27, v25
	v_dual_mul_f32 v26, 0x3f0a6770, v47 :: v_dual_fmamk_f32 v91, v34, 0x3f0a6770, v89
	v_fmamk_f32 v5, v44, 0xbf75a155, v45
	v_mul_f32_e32 v48, 0xbe11bafb, v46
	v_mul_f32_e32 v52, 0xbf4178ce, v49
	s_delay_alu instid0(VALU_DEP_4)
	v_fmamk_f32 v6, v24, 0x3f575c64, v26
	v_dual_add_f32 v3, v4, v3 :: v_dual_add_f32 v56, v29, v33
	v_fmamk_f32 v4, v34, 0xbf68dda4, v28
	v_mul_f32_e32 v59, 0x3f575c64, v39
	v_add_f32_e32 v51, v31, v11
	v_mul_f32_e32 v79, 0x3ed4b147, v46
	v_add_f32_e32 v5, v0, v5
	v_dual_add_f32 v3, v4, v3 :: v_dual_fmamk_f32 v4, v50, 0x3f7d64f0, v48
	v_dual_mul_f32 v53, 0xbf27a4f4, v17 :: v_dual_mul_f32 v92, 0xbf27a4f4, v46
	s_delay_alu instid0(VALU_DEP_3) | instskip(SKIP_1) | instid1(VALU_DEP_4)
	v_dual_mul_f32 v80, 0x3f7d64f0, v47 :: v_dual_add_f32 v5, v6, v5
	v_fmamk_f32 v6, v51, 0xbf27a4f4, v52
	v_add_f32_e32 v4, v4, v3
	v_mul_f32_e32 v86, 0xbe903f40, v54
	s_delay_alu instid0(VALU_DEP_4) | instskip(SKIP_4) | instid1(VALU_DEP_4)
	v_fmamk_f32 v8, v24, 0xbe11bafb, v80
	v_dual_mul_f32 v93, 0x3e903f40, v47 :: v_dual_add_f32 v12, v12, v1
	v_add_f32_e32 v3, v6, v5
	v_fmamk_f32 v5, v22, 0x3f4178ce, v53
	v_fmamk_f32 v6, v2, 0xbf7d64f0, v55
	v_dual_mul_f32 v85, 0xbf75a155, v9 :: v_dual_fmamk_f32 v94, v24, 0xbf75a155, v93
	s_delay_alu instid0(VALU_DEP_3)
	v_dual_mul_f32 v88, 0x3f68dda4, v58 :: v_dual_add_f32 v5, v1, v5
	v_mul_f32_e32 v90, 0xbf7d64f0, v42
	v_mul_f32_e32 v96, 0xbf27a4f4, v9
	;; [unrolled: 1-line block ×4, first 2 shown]
	v_dual_add_f32 v5, v6, v5 :: v_dual_fmamk_f32 v6, v40, 0x3f0a6770, v59
	s_delay_alu instid0(VALU_DEP_4) | instskip(SKIP_2) | instid1(VALU_DEP_4)
	v_fmamk_f32 v98, v2, 0x3f4178ce, v96
	v_dual_mul_f32 v63, 0xbf4178ce, v42 :: v_dual_mul_f32 v104, 0xbf4178ce, v47
	v_mul_f32_e32 v81, 0xbe11bafb, v17
	v_add_f32_e32 v5, v6, v5
	v_fmamk_f32 v6, v34, 0x3e903f40, v62
	v_fmamk_f32 v10, v2, 0xbe903f40, v85
	v_mul_f32_e32 v102, 0xbf68dda4, v42
	v_mul_f32_e32 v87, 0x3ed4b147, v39
	;; [unrolled: 1-line block ×3, first 2 shown]
	v_add_f32_e32 v5, v6, v5
	v_fmamk_f32 v6, v50, 0xbf68dda4, v79
	v_mul_f32_e32 v57, 0x3f68dda4, v54
	v_mul_f32_e32 v95, 0x3f68dda4, v49
	;; [unrolled: 1-line block ×4, first 2 shown]
	s_delay_alu instid0(VALU_DEP_4)
	v_dual_add_f32 v6, v6, v5 :: v_dual_fmamk_f32 v7, v56, 0x3ed4b147, v57
	v_fmamk_f32 v5, v22, 0x3f7d64f0, v81
	v_mul_f32_e32 v103, 0x3f575c64, v46
	v_mul_f32_e32 v99, 0xbf75a155, v39
	v_fmac_f32_e32 v21, 0xbe903f40, v22
	v_add_f32_e32 v3, v7, v3
	v_fmamk_f32 v7, v60, 0xbe11bafb, v61
	v_add_f32_e32 v5, v1, v5
	v_dual_add_f32 v12, v13, v12 :: v_dual_add_f32 v13, v0, v14
	v_add_f32_e32 v21, v1, v21
	s_delay_alu instid0(VALU_DEP_4) | instskip(SKIP_3) | instid1(VALU_DEP_3)
	v_add_f32_e32 v3, v7, v3
	v_fmamk_f32 v7, v44, 0xbf27a4f4, v63
	v_dual_add_f32 v5, v10, v5 :: v_dual_fmamk_f32 v10, v40, 0xbf68dda4, v87
	v_add_f32_e32 v12, v36, v12
	v_dual_mul_f32 v36, 0xbf75a155, v46 :: v_dual_add_f32 v7, v0, v7
	v_fmac_f32_e32 v28, 0x3f68dda4, v34
	s_delay_alu instid0(VALU_DEP_4) | instskip(NEXT) | instid1(VALU_DEP_4)
	v_add_f32_e32 v10, v10, v5
	v_add_f32_e32 v12, v32, v12
	s_delay_alu instid0(VALU_DEP_4) | instskip(SKIP_4) | instid1(VALU_DEP_4)
	v_dual_mul_f32 v32, 0xbf7d64f0, v49 :: v_dual_add_f32 v7, v8, v7
	v_fmamk_f32 v8, v51, 0x3f575c64, v82
	v_add_f32_e32 v13, v19, v13
	v_fmac_f32_e32 v23, 0x3f0a6770, v2
	v_mul_f32_e32 v39, 0xbe11bafb, v39
	v_dual_fmac_f32 v48, 0xbf7d64f0, v50 :: v_dual_add_f32 v7, v8, v7
	s_delay_alu instid0(VALU_DEP_4) | instskip(SKIP_3) | instid1(VALU_DEP_4)
	v_dual_fmamk_f32 v8, v56, 0xbf75a155, v86 :: v_dual_add_f32 v11, v11, v13
	v_fmamk_f32 v13, v50, 0x3e903f40, v36
	v_mul_f32_e32 v105, 0x3f575c64, v17
	v_mul_f32_e32 v41, 0xbf27a4f4, v41
	v_add_f32_e32 v7, v8, v7
	v_fmamk_f32 v8, v60, 0x3ed4b147, v88
	v_mul_f32_e32 v106, 0x3e903f40, v49
	v_fmac_f32_e32 v35, 0xbf4178ce, v40
	v_fmac_f32_e32 v53, 0xbf4178ce, v22
	v_mul_f32_e32 v109, 0x3f0a6770, v58
	v_dual_add_f32 v5, v8, v7 :: v_dual_add_f32 v8, v91, v10
	v_fmamk_f32 v10, v50, 0x3f4178ce, v92
	v_mul_f32_e32 v91, 0x3ed4b147, v17
	v_fmamk_f32 v7, v44, 0xbe11bafb, v90
	v_mul_f32_e32 v47, 0xbf68dda4, v47
	s_delay_alu instid0(VALU_DEP_4) | instskip(NEXT) | instid1(VALU_DEP_3)
	v_dual_fmac_f32 v79, 0x3f68dda4, v50 :: v_dual_add_f32 v8, v10, v8
	v_dual_fmamk_f32 v10, v22, 0x3f68dda4, v91 :: v_dual_add_f32 v7, v0, v7
	v_fmac_f32_e32 v55, 0x3f7d64f0, v2
	s_delay_alu instid0(VALU_DEP_4) | instskip(SKIP_1) | instid1(VALU_DEP_4)
	v_fmamk_f32 v19, v24, 0x3ed4b147, v47
	v_dual_add_f32 v11, v33, v11 :: v_dual_fmac_f32 v92, 0xbf4178ce, v50
	v_dual_add_f32 v10, v1, v10 :: v_dual_fmac_f32 v59, 0xbf0a6770, v40
	v_fmac_f32_e32 v85, 0x3e903f40, v2
	v_mul_f32_e32 v42, 0xbf0a6770, v42
	v_fmac_f32_e32 v62, 0xbe903f40, v34
	s_delay_alu instid0(VALU_DEP_4) | instskip(SKIP_3) | instid1(VALU_DEP_3)
	v_add_f32_e32 v10, v98, v10
	v_fmamk_f32 v98, v40, 0xbe903f40, v99
	v_fmac_f32_e32 v99, 0x3e903f40, v40
	v_fmac_f32_e32 v36, 0xbe903f40, v50
	v_add_f32_e32 v10, v98, v10
	v_fmamk_f32 v98, v34, 0xbf7d64f0, v101
	v_fmac_f32_e32 v101, 0x3f7d64f0, v34
	s_delay_alu instid0(VALU_DEP_2) | instskip(SKIP_1) | instid1(VALU_DEP_1)
	v_add_f32_e32 v10, v98, v10
	v_fmamk_f32 v98, v50, 0xbf0a6770, v103
	v_add_f32_e32 v10, v98, v10
	v_fmamk_f32 v98, v22, 0x3f0a6770, v105
	v_add_f32_e32 v7, v94, v7
	v_fmac_f32_e32 v81, 0xbf7d64f0, v22
	v_fmac_f32_e32 v96, 0xbf4178ce, v2
	s_delay_alu instid0(VALU_DEP_4) | instskip(SKIP_1) | instid1(VALU_DEP_2)
	v_add_f32_e32 v98, v1, v98
	v_fmac_f32_e32 v89, 0xbf0a6770, v34
	v_dual_fmamk_f32 v33, v51, 0xbe11bafb, v32 :: v_dual_add_f32 v98, v108, v98
	v_fmamk_f32 v108, v40, 0x3f7d64f0, v39
	s_delay_alu instid0(VALU_DEP_1) | instskip(SKIP_2) | instid1(VALU_DEP_2)
	v_add_f32_e32 v98, v108, v98
	v_fmamk_f32 v108, v34, 0x3f4178ce, v41
	v_fmac_f32_e32 v91, 0xbf68dda4, v22
	v_add_f32_e32 v14, v108, v98
	v_fmamk_f32 v94, v51, 0x3ed4b147, v95
	s_delay_alu instid0(VALU_DEP_1) | instskip(NEXT) | instid1(VALU_DEP_1)
	v_dual_add_f32 v7, v94, v7 :: v_dual_fmamk_f32 v94, v56, 0x3f575c64, v97
	v_dual_add_f32 v7, v94, v7 :: v_dual_fmamk_f32 v94, v60, 0xbf27a4f4, v100
	s_delay_alu instid0(VALU_DEP_1) | instskip(SKIP_1) | instid1(VALU_DEP_2)
	v_dual_add_f32 v7, v94, v7 :: v_dual_fmamk_f32 v94, v44, 0x3ed4b147, v102
	v_fmac_f32_e32 v87, 0x3f68dda4, v40
	v_add_f32_e32 v17, v0, v94
	v_fmamk_f32 v94, v24, 0xbf27a4f4, v104
	s_delay_alu instid0(VALU_DEP_1) | instskip(SKIP_1) | instid1(VALU_DEP_1)
	v_add_f32_e32 v9, v94, v17
	v_fmamk_f32 v17, v51, 0xbf75a155, v106
	v_dual_mul_f32 v94, 0x3f7d64f0, v54 :: v_dual_add_f32 v9, v17, v9
	s_delay_alu instid0(VALU_DEP_1) | instskip(NEXT) | instid1(VALU_DEP_1)
	v_fmamk_f32 v17, v56, 0xbe11bafb, v94
	v_add_f32_e32 v9, v17, v9
	v_fmamk_f32 v17, v60, 0x3f575c64, v109
	s_delay_alu instid0(VALU_DEP_1) | instskip(SKIP_1) | instid1(VALU_DEP_1)
	v_add_f32_e32 v9, v17, v9
	v_fmamk_f32 v17, v44, 0x3f575c64, v42
	v_add_f32_e32 v17, v0, v17
	s_delay_alu instid0(VALU_DEP_1)
	v_add_f32_e32 v17, v19, v17
	v_add_f32_e32 v19, v43, v12
	v_mul_f32_e32 v43, 0xbf4178ce, v54
	v_add_f32_e32 v12, v13, v14
	v_fmac_f32_e32 v105, 0xbf0a6770, v22
	v_fma_f32 v22, 0x3f575c64, v44, -v42
	v_add_f32_e32 v13, v37, v19
	v_add_f32_e32 v11, v25, v11
	v_dual_add_f32 v14, v33, v17 :: v_dual_mul_f32 v19, 0xbe903f40, v58
	v_fmac_f32_e32 v103, 0x3f0a6770, v50
	s_delay_alu instid0(VALU_DEP_4) | instskip(NEXT) | instid1(VALU_DEP_4)
	v_add_f32_e32 v13, v30, v13
	v_add_f32_e32 v11, v27, v11
	v_fma_f32 v27, 0xbf27a4f4, v24, -v104
	v_fmamk_f32 v17, v56, 0xbf27a4f4, v43
	s_delay_alu instid0(VALU_DEP_4) | instskip(NEXT) | instid1(VALU_DEP_4)
	v_add_f32_e32 v13, v38, v13
	v_add_f32_e32 v25, v29, v11
	s_delay_alu instid0(VALU_DEP_3) | instskip(NEXT) | instid1(VALU_DEP_3)
	v_dual_add_f32 v14, v17, v14 :: v_dual_fmamk_f32 v17, v60, 0xbf75a155, v19
	v_add_f32_e32 v13, v18, v13
	v_add_f32_e32 v18, v23, v21
	v_fma_f32 v23, 0x3f575c64, v24, -v26
	v_fma_f32 v26, 0x3ed4b147, v60, -v88
	v_add_f32_e32 v11, v17, v14
	v_fma_f32 v14, 0xbf75a155, v44, -v45
	v_add_f32_e32 v17, v31, v25
	v_fma_f32 v25, 0xbe11bafb, v44, -v90
	v_fmac_f32_e32 v107, 0xbf68dda4, v2
	v_fmac_f32_e32 v39, 0xbf7d64f0, v40
	v_add_f32_e32 v21, v0, v14
	v_add_f32_e32 v14, v16, v13
	v_dual_add_f32 v13, v20, v17 :: v_dual_add_f32 v16, v35, v18
	v_fma_f32 v18, 0xbf27a4f4, v51, -v52
	s_delay_alu instid0(VALU_DEP_4) | instskip(SKIP_1) | instid1(VALU_DEP_4)
	v_add_f32_e32 v17, v23, v21
	v_add_f32_e32 v20, v1, v53
	;; [unrolled: 1-line block ×4, first 2 shown]
	v_fma_f32 v23, 0xbe11bafb, v24, -v80
	v_add_f32_e32 v17, v18, v17
	v_fma_f32 v18, 0x3ed4b147, v56, -v57
	v_add_f32_e32 v20, v55, v20
	v_add_f32_e32 v16, v48, v15
	v_fma_f32 v15, 0xbf27a4f4, v44, -v63
	v_fmac_f32_e32 v41, 0xbf4178ce, v34
	v_add_f32_e32 v17, v18, v17
	v_fma_f32 v18, 0xbe11bafb, v60, -v61
	s_delay_alu instid0(VALU_DEP_4) | instskip(NEXT) | instid1(VALU_DEP_2)
	v_add_f32_e32 v21, v0, v15
	v_add_f32_e32 v15, v18, v17
	;; [unrolled: 1-line block ×3, first 2 shown]
	s_delay_alu instid0(VALU_DEP_3) | instskip(SKIP_3) | instid1(VALU_DEP_3)
	v_add_f32_e32 v18, v23, v21
	v_fma_f32 v20, 0x3f575c64, v51, -v82
	v_fma_f32 v23, 0xbf75a155, v56, -v86
	v_add_f32_e32 v21, v1, v81
	v_dual_add_f32 v17, v62, v17 :: v_dual_add_f32 v20, v20, v18
	v_fma_f32 v2, 0x3ed4b147, v24, -v47
	s_delay_alu instid0(VALU_DEP_3) | instskip(NEXT) | instid1(VALU_DEP_3)
	v_add_f32_e32 v21, v85, v21
	v_add_f32_e32 v18, v79, v17
	s_delay_alu instid0(VALU_DEP_4) | instskip(SKIP_1) | instid1(VALU_DEP_4)
	v_add_f32_e32 v17, v23, v20
	v_fma_f32 v23, 0xbf75a155, v24, -v93
	v_add_f32_e32 v20, v87, v21
	v_add_f32_e32 v21, v0, v25
	;; [unrolled: 1-line block ×4, first 2 shown]
	v_fma_f32 v26, 0x3ed4b147, v44, -v102
	v_add_f32_e32 v1, v1, v105
	v_add_f32_e32 v21, v23, v21
	v_fma_f32 v23, 0x3ed4b147, v51, -v95
	v_add_f32_e32 v20, v89, v20
	v_add_f32_e32 v26, v0, v26
	;; [unrolled: 1-line block ×3, first 2 shown]
	v_fma_f32 v24, 0xbf75a155, v51, -v106
	v_add_f32_e32 v25, v96, v25
	v_add_f32_e32 v1, v107, v1
	;; [unrolled: 1-line block ×4, first 2 shown]
	v_fma_f32 v2, 0xbe11bafb, v51, -v32
	v_add_f32_e32 v21, v23, v21
	v_fma_f32 v23, 0x3f575c64, v56, -v97
	v_add_f32_e32 v20, v92, v20
	v_add_f32_e32 v22, v24, v22
	v_add_f32_e32 v0, v2, v0
	v_fma_f32 v2, 0xbf27a4f4, v56, -v43
	v_fma_f32 v24, 0xbe11bafb, v56, -v94
	v_add_f32_e32 v25, v99, v25
	v_add_f32_e32 v1, v39, v1
	;; [unrolled: 1-line block ×3, first 2 shown]
	v_fma_f32 v23, 0xbf27a4f4, v60, -v100
	v_add_f32_e32 v2, v2, v0
	v_fma_f32 v27, 0xbf75a155, v60, -v19
	v_add_f32_e32 v22, v24, v22
	;; [unrolled: 2-line block ×3, first 2 shown]
	v_add_f32_e32 v26, v41, v1
	v_add_f32_e32 v19, v23, v21
	v_dual_add_f32 v21, v27, v2 :: v_dual_add_nc_u32 v2, 0x800, v83
	v_dual_add_f32 v0, v24, v22 :: v_dual_add_nc_u32 v23, 0x1000, v83
	;; [unrolled: 1-line block ×4, first 2 shown]
	ds_store_2addr_b64 v83, v[13:14], v[11:12] offset1:147
	ds_store_2addr_b64 v2, v[9:10], v[7:8] offset0:38 offset1:185
	ds_store_2addr_b64 v23, v[5:6], v[3:4] offset0:76 offset1:223
	ds_store_2addr_b64 v24, v[15:16], v[17:18] offset0:50 offset1:197
	ds_store_2addr_b64 v25, v[19:20], v[0:1] offset0:24 offset1:171
	ds_store_b64 v83, v[21:22] offset:11760
.LBB0_21:
	s_wait_alu 0xfffe
	s_or_b32 exec_lo, exec_lo, s1
	global_wb scope:SCOPE_SE
	s_wait_dscnt 0x0
	s_barrier_signal -1
	s_barrier_wait -1
	global_inv scope:SCOPE_SE
	ds_load_2addr_b64 v[0:3], v83 offset1:231
	v_add_nc_u32_e32 v4, 0x1080, v83
	v_add_nc_u32_e32 v8, 0x2100, v83
	v_mad_co_u64_u32 v[24:25], null, s6, v64, 0
	v_mad_co_u64_u32 v[26:27], null, s4, v84, 0
	s_mov_b32 s2, 0x929a339d
	s_mov_b32 s3, 0x3f4443c2
	s_delay_alu instid0(VALU_DEP_1)
	v_mad_co_u64_u32 v[28:29], null, s7, v64, v[25:26]
	s_mul_u64 s[6:7], s[4:5], 0x21b
	s_wait_alu 0xfffe
	s_lshl_b64 s[6:7], s[6:7], 3
	s_wait_dscnt 0x0
	v_mul_f32_e32 v15, v78, v2
	v_mul_f32_e32 v13, v74, v0
	ds_load_2addr_b64 v[4:7], v4 offset0:11 offset1:242
	ds_load_2addr_b64 v[8:11], v8 offset0:22 offset1:253
	v_mad_co_u64_u32 v[29:30], null, s5, v84, v[27:28]
	v_mul_f32_e32 v12, v74, v1
	v_mul_f32_e32 v14, v78, v3
	v_fma_f32 v13, v73, v1, -v13
	v_fma_f32 v15, v77, v3, -v15
	v_mov_b32_e32 v25, v28
	v_mov_b32_e32 v27, v29
	s_delay_alu instid0(VALU_DEP_2) | instskip(NEXT) | instid1(VALU_DEP_2)
	v_lshlrev_b64_e32 v[24:25], 3, v[24:25]
	v_lshlrev_b64_e32 v[26:27], 3, v[26:27]
	s_wait_dscnt 0x1
	v_mul_f32_e32 v16, v72, v5
	v_mul_f32_e32 v17, v72, v4
	s_wait_dscnt 0x0
	v_mul_f32_e32 v18, v68, v9
	v_mul_f32_e32 v19, v68, v8
	v_dual_fmac_f32 v12, v73, v0 :: v_dual_mul_f32 v21, v70, v6
	v_fmac_f32_e32 v14, v77, v2
	v_dual_mul_f32 v20, v70, v7 :: v_dual_mul_f32 v23, v76, v10
	v_fmac_f32_e32 v16, v71, v4
	v_fma_f32 v17, v71, v5, -v17
	v_fmac_f32_e32 v18, v67, v8
	v_mul_f32_e32 v22, v76, v11
	v_fma_f32 v19, v67, v9, -v19
	v_cvt_f64_f32_e32 v[0:1], v12
	v_cvt_f64_f32_e32 v[2:3], v13
	;; [unrolled: 1-line block ×7, first 2 shown]
	v_fmac_f32_e32 v20, v69, v6
	v_fma_f32 v18, v69, v7, -v21
	v_fmac_f32_e32 v22, v75, v10
	v_fma_f32 v23, v75, v11, -v23
	v_cvt_f64_f32_e32 v[6:7], v19
	v_cvt_f64_f32_e32 v[10:11], v20
	;; [unrolled: 1-line block ×5, first 2 shown]
	v_mul_f64_e32 v[0:1], s[2:3], v[0:1]
	v_mul_f64_e32 v[2:3], s[2:3], v[2:3]
	;; [unrolled: 1-line block ×12, first 2 shown]
	v_cvt_f32_f64_e32 v28, v[0:1]
	v_cvt_f32_f64_e32 v29, v[2:3]
	;; [unrolled: 1-line block ×3, first 2 shown]
	v_add_co_u32 v0, s0, s8, v24
	v_cvt_f32_f64_e32 v4, v[12:13]
	v_cvt_f32_f64_e32 v5, v[14:15]
	;; [unrolled: 1-line block ×4, first 2 shown]
	s_wait_alu 0xf1ff
	v_add_co_ci_u32_e64 v1, s0, s9, v25, s0
	v_cvt_f32_f64_e32 v9, v[6:7]
	v_cvt_f32_f64_e32 v6, v[10:11]
	;; [unrolled: 1-line block ×5, first 2 shown]
	v_add_co_u32 v12, s0, v0, v26
	s_wait_alu 0xf1ff
	v_add_co_ci_u32_e64 v13, s0, v1, v27, s0
	s_movk_i32 s8, 0xfcb1
	s_wait_alu 0xfffe
	v_add_co_u32 v14, s0, v12, s6
	s_wait_alu 0xf1ff
	v_add_co_ci_u32_e64 v15, s0, s7, v13, s0
	s_mov_b32 s9, -1
	s_delay_alu instid0(VALU_DEP_2)
	v_add_co_u32 v16, s0, v14, s6
	s_wait_alu 0xfffe
	s_mul_u64 s[4:5], s[4:5], s[8:9]
	v_add_co_ci_u32_e64 v17, s0, s7, v15, s0
	s_wait_alu 0xfffe
	s_lshl_b64 s[4:5], s[4:5], 3
	s_wait_alu 0xfffe
	v_add_co_u32 v18, s0, v16, s4
	s_wait_alu 0xf1ff
	v_add_co_ci_u32_e64 v19, s0, s5, v17, s0
	s_delay_alu instid0(VALU_DEP_2) | instskip(SKIP_1) | instid1(VALU_DEP_2)
	v_add_co_u32 v20, s0, v18, s6
	s_wait_alu 0xf1ff
	v_add_co_ci_u32_e64 v21, s0, s7, v19, s0
	s_delay_alu instid0(VALU_DEP_2) | instskip(SKIP_1) | instid1(VALU_DEP_2)
	v_add_co_u32 v0, s0, v20, s6
	s_wait_alu 0xf1ff
	v_add_co_ci_u32_e64 v1, s0, s7, v21, s0
	s_clause 0x4
	global_store_b64 v[12:13], v[28:29], off
	global_store_b64 v[14:15], v[4:5], off
	;; [unrolled: 1-line block ×6, first 2 shown]
	s_and_b32 exec_lo, exec_lo, vcc_lo
	s_cbranch_execz .LBB0_23
; %bb.22:
	s_clause 0x2
	global_load_b64 v[2:3], v[65:66], off offset:3696
	global_load_b64 v[4:5], v[65:66], off offset:8008
	;; [unrolled: 1-line block ×3, first 2 shown]
	ds_load_b64 v[8:9], v83 offset:3696
	ds_load_b64 v[10:11], v83 offset:8008
	;; [unrolled: 1-line block ×3, first 2 shown]
	v_add_co_u32 v0, vcc_lo, v0, s4
	s_wait_alu 0xfffd
	v_add_co_ci_u32_e32 v1, vcc_lo, s5, v1, vcc_lo
	s_wait_loadcnt_dscnt 0x101
	v_dual_mul_f32 v14, v9, v3 :: v_dual_mul_f32 v15, v11, v5
	v_mul_f32_e32 v3, v8, v3
	s_wait_loadcnt_dscnt 0x0
	v_dual_mul_f32 v5, v10, v5 :: v_dual_mul_f32 v16, v13, v7
	v_mul_f32_e32 v7, v12, v7
	v_dual_fmac_f32 v14, v8, v2 :: v_dual_fmac_f32 v15, v10, v4
	v_fma_f32 v8, v2, v9, -v3
	s_delay_alu instid0(VALU_DEP_4)
	v_fma_f32 v9, v4, v11, -v5
	v_fmac_f32_e32 v16, v12, v6
	v_fma_f32 v12, v6, v13, -v7
	v_cvt_f64_f32_e32 v[2:3], v14
	v_cvt_f64_f32_e32 v[4:5], v8
	;; [unrolled: 1-line block ×6, first 2 shown]
	v_mul_f64_e32 v[2:3], s[2:3], v[2:3]
	v_mul_f64_e32 v[4:5], s[2:3], v[4:5]
	;; [unrolled: 1-line block ×6, first 2 shown]
	v_cvt_f32_f64_e32 v2, v[2:3]
	v_cvt_f32_f64_e32 v3, v[4:5]
	;; [unrolled: 1-line block ×6, first 2 shown]
	v_add_co_u32 v8, vcc_lo, v0, s6
	s_wait_alu 0xfffd
	v_add_co_ci_u32_e32 v9, vcc_lo, s7, v1, vcc_lo
	s_delay_alu instid0(VALU_DEP_2) | instskip(SKIP_1) | instid1(VALU_DEP_2)
	v_add_co_u32 v10, vcc_lo, v8, s6
	s_wait_alu 0xfffd
	v_add_co_ci_u32_e32 v11, vcc_lo, s7, v9, vcc_lo
	global_store_b64 v[0:1], v[2:3], off
	global_store_b64 v[8:9], v[4:5], off
	;; [unrolled: 1-line block ×3, first 2 shown]
.LBB0_23:
	s_nop 0
	s_sendmsg sendmsg(MSG_DEALLOC_VGPRS)
	s_endpgm
	.section	.rodata,"a",@progbits
	.p2align	6, 0x0
	.amdhsa_kernel bluestein_single_fwd_len1617_dim1_sp_op_CI_CI
		.amdhsa_group_segment_fixed_size 12936
		.amdhsa_private_segment_fixed_size 0
		.amdhsa_kernarg_size 104
		.amdhsa_user_sgpr_count 2
		.amdhsa_user_sgpr_dispatch_ptr 0
		.amdhsa_user_sgpr_queue_ptr 0
		.amdhsa_user_sgpr_kernarg_segment_ptr 1
		.amdhsa_user_sgpr_dispatch_id 0
		.amdhsa_user_sgpr_private_segment_size 0
		.amdhsa_wavefront_size32 1
		.amdhsa_uses_dynamic_stack 0
		.amdhsa_enable_private_segment 0
		.amdhsa_system_sgpr_workgroup_id_x 1
		.amdhsa_system_sgpr_workgroup_id_y 0
		.amdhsa_system_sgpr_workgroup_id_z 0
		.amdhsa_system_sgpr_workgroup_info 0
		.amdhsa_system_vgpr_workitem_id 0
		.amdhsa_next_free_vgpr 198
		.amdhsa_next_free_sgpr 18
		.amdhsa_reserve_vcc 1
		.amdhsa_float_round_mode_32 0
		.amdhsa_float_round_mode_16_64 0
		.amdhsa_float_denorm_mode_32 3
		.amdhsa_float_denorm_mode_16_64 3
		.amdhsa_fp16_overflow 0
		.amdhsa_workgroup_processor_mode 1
		.amdhsa_memory_ordered 1
		.amdhsa_forward_progress 0
		.amdhsa_round_robin_scheduling 0
		.amdhsa_exception_fp_ieee_invalid_op 0
		.amdhsa_exception_fp_denorm_src 0
		.amdhsa_exception_fp_ieee_div_zero 0
		.amdhsa_exception_fp_ieee_overflow 0
		.amdhsa_exception_fp_ieee_underflow 0
		.amdhsa_exception_fp_ieee_inexact 0
		.amdhsa_exception_int_div_zero 0
	.end_amdhsa_kernel
	.text
.Lfunc_end0:
	.size	bluestein_single_fwd_len1617_dim1_sp_op_CI_CI, .Lfunc_end0-bluestein_single_fwd_len1617_dim1_sp_op_CI_CI
                                        ; -- End function
	.section	.AMDGPU.csdata,"",@progbits
; Kernel info:
; codeLenInByte = 11988
; NumSgprs: 20
; NumVgprs: 198
; ScratchSize: 0
; MemoryBound: 0
; FloatMode: 240
; IeeeMode: 1
; LDSByteSize: 12936 bytes/workgroup (compile time only)
; SGPRBlocks: 2
; VGPRBlocks: 24
; NumSGPRsForWavesPerEU: 20
; NumVGPRsForWavesPerEU: 198
; Occupancy: 7
; WaveLimiterHint : 1
; COMPUTE_PGM_RSRC2:SCRATCH_EN: 0
; COMPUTE_PGM_RSRC2:USER_SGPR: 2
; COMPUTE_PGM_RSRC2:TRAP_HANDLER: 0
; COMPUTE_PGM_RSRC2:TGID_X_EN: 1
; COMPUTE_PGM_RSRC2:TGID_Y_EN: 0
; COMPUTE_PGM_RSRC2:TGID_Z_EN: 0
; COMPUTE_PGM_RSRC2:TIDIG_COMP_CNT: 0
	.text
	.p2alignl 7, 3214868480
	.fill 96, 4, 3214868480
	.type	__hip_cuid_6b5026e07a333dc6,@object ; @__hip_cuid_6b5026e07a333dc6
	.section	.bss,"aw",@nobits
	.globl	__hip_cuid_6b5026e07a333dc6
__hip_cuid_6b5026e07a333dc6:
	.byte	0                               ; 0x0
	.size	__hip_cuid_6b5026e07a333dc6, 1

	.ident	"AMD clang version 19.0.0git (https://github.com/RadeonOpenCompute/llvm-project roc-6.4.0 25133 c7fe45cf4b819c5991fe208aaa96edf142730f1d)"
	.section	".note.GNU-stack","",@progbits
	.addrsig
	.addrsig_sym __hip_cuid_6b5026e07a333dc6
	.amdgpu_metadata
---
amdhsa.kernels:
  - .args:
      - .actual_access:  read_only
        .address_space:  global
        .offset:         0
        .size:           8
        .value_kind:     global_buffer
      - .actual_access:  read_only
        .address_space:  global
        .offset:         8
        .size:           8
        .value_kind:     global_buffer
      - .actual_access:  read_only
        .address_space:  global
        .offset:         16
        .size:           8
        .value_kind:     global_buffer
      - .actual_access:  read_only
        .address_space:  global
        .offset:         24
        .size:           8
        .value_kind:     global_buffer
      - .actual_access:  read_only
        .address_space:  global
        .offset:         32
        .size:           8
        .value_kind:     global_buffer
      - .offset:         40
        .size:           8
        .value_kind:     by_value
      - .address_space:  global
        .offset:         48
        .size:           8
        .value_kind:     global_buffer
      - .address_space:  global
        .offset:         56
        .size:           8
        .value_kind:     global_buffer
      - .address_space:  global
        .offset:         64
        .size:           8
        .value_kind:     global_buffer
      - .address_space:  global
        .offset:         72
        .size:           8
        .value_kind:     global_buffer
      - .offset:         80
        .size:           4
        .value_kind:     by_value
      - .address_space:  global
        .offset:         88
        .size:           8
        .value_kind:     global_buffer
      - .address_space:  global
        .offset:         96
        .size:           8
        .value_kind:     global_buffer
    .group_segment_fixed_size: 12936
    .kernarg_segment_align: 8
    .kernarg_segment_size: 104
    .language:       OpenCL C
    .language_version:
      - 2
      - 0
    .max_flat_workgroup_size: 231
    .name:           bluestein_single_fwd_len1617_dim1_sp_op_CI_CI
    .private_segment_fixed_size: 0
    .sgpr_count:     20
    .sgpr_spill_count: 0
    .symbol:         bluestein_single_fwd_len1617_dim1_sp_op_CI_CI.kd
    .uniform_work_group_size: 1
    .uses_dynamic_stack: false
    .vgpr_count:     198
    .vgpr_spill_count: 0
    .wavefront_size: 32
    .workgroup_processor_mode: 1
amdhsa.target:   amdgcn-amd-amdhsa--gfx1201
amdhsa.version:
  - 1
  - 2
...

	.end_amdgpu_metadata
